;; amdgpu-corpus repo=ROCm/vllm kind=compiled arch=gfx1201 opt=O3
	.amdgcn_target "amdgcn-amd-amdhsa--gfx1201"
	.amdhsa_code_object_version 6
	.section	.text._ZN4vllm18act_and_mul_kernelIfTnPFT_RKS1_EXadL_ZNS_11silu_kernelIfEES1_S3_EELb1EEEvPS1_PS2_i,"axG",@progbits,_ZN4vllm18act_and_mul_kernelIfTnPFT_RKS1_EXadL_ZNS_11silu_kernelIfEES1_S3_EELb1EEEvPS1_PS2_i,comdat
	.protected	_ZN4vllm18act_and_mul_kernelIfTnPFT_RKS1_EXadL_ZNS_11silu_kernelIfEES1_S3_EELb1EEEvPS1_PS2_i ; -- Begin function _ZN4vllm18act_and_mul_kernelIfTnPFT_RKS1_EXadL_ZNS_11silu_kernelIfEES1_S3_EELb1EEEvPS1_PS2_i
	.globl	_ZN4vllm18act_and_mul_kernelIfTnPFT_RKS1_EXadL_ZNS_11silu_kernelIfEES1_S3_EELb1EEEvPS1_PS2_i
	.p2align	8
	.type	_ZN4vllm18act_and_mul_kernelIfTnPFT_RKS1_EXadL_ZNS_11silu_kernelIfEES1_S3_EELb1EEEvPS1_PS2_i,@function
_ZN4vllm18act_and_mul_kernelIfTnPFT_RKS1_EXadL_ZNS_11silu_kernelIfEES1_S3_EELb1EEEvPS1_PS2_i: ; @_ZN4vllm18act_and_mul_kernelIfTnPFT_RKS1_EXadL_ZNS_11silu_kernelIfEES1_S3_EELb1EEEvPS1_PS2_i
; %bb.0:
	s_load_b32 s2, s[0:1], 0x10
	s_mov_b32 s3, exec_lo
	s_wait_kmcnt 0x0
	v_cmpx_gt_i32_e64 s2, v0
	s_cbranch_execz .LBB0_3
; %bb.1:
	s_clause 0x1
	s_load_b128 s[8:11], s[0:1], 0x0
	s_load_b32 s14, s[0:1], 0x24
	s_mov_b32 s4, ttmp9
	s_ashr_i32 s3, s2, 31
	s_mov_b32 s5, 0
	v_dual_mov_b32 v1, 0 :: v_dual_lshlrev_b32 v2, 2, v0
	s_wait_alu 0xfffe
	s_mul_u64 s[0:1], s[4:5], s[2:3]
	s_lshl_b64 s[12:13], s[2:3], 2
	s_lshl_b64 s[6:7], s[0:1], 3
	;; [unrolled: 1-line block ×3, first 2 shown]
	v_mov_b32_e32 v3, v1
	s_wait_kmcnt 0x0
	s_add_nc_u64 s[6:7], s[10:11], s[6:7]
	s_add_nc_u64 s[8:9], s[8:9], s[0:1]
	s_and_b32 s1, s14, 0xffff
	s_add_nc_u64 s[10:11], s[6:7], s[12:13]
	s_lshl_b32 s4, s1, 2
.LBB0_2:                                ; =>This Inner Loop Header: Depth=1
	v_add_co_u32 v4, vcc_lo, s6, v2
	s_wait_alu 0xfffd
	v_add_co_ci_u32_e64 v5, null, s7, v3, vcc_lo
	v_add_co_u32 v0, s0, v0, s1
	s_wait_alu 0xf1ff
	v_add_co_ci_u32_e64 v1, null, 0, v1, s0
	global_load_b32 v6, v[4:5], off
	v_add_co_u32 v4, vcc_lo, s10, v2
	s_wait_alu 0xfffd
	v_add_co_ci_u32_e64 v5, null, s11, v3, vcc_lo
	global_load_b32 v7, v[4:5], off
	s_wait_loadcnt 0x1
	v_mul_f32_e32 v4, 0xbfb8aa3b, v6
	v_cmp_nlt_f32_e32 vcc_lo, 0x42ce8ed0, v6
	s_delay_alu instid0(VALU_DEP_2) | instskip(SKIP_1) | instid1(VALU_DEP_1)
	v_fma_f32 v5, 0xbfb8aa3b, v6, -v4
	v_rndne_f32_e32 v8, v4
	v_dual_fmac_f32 v5, 0xb2a5705f, v6 :: v_dual_sub_f32 v4, v4, v8
	s_delay_alu instid0(VALU_DEP_1) | instskip(SKIP_1) | instid1(VALU_DEP_2)
	v_add_f32_e32 v4, v4, v5
	v_cvt_i32_f32_e32 v5, v8
	v_exp_f32_e32 v4, v4
	s_delay_alu instid0(TRANS32_DEP_1) | instskip(SKIP_1) | instid1(VALU_DEP_1)
	v_ldexp_f32 v4, v4, v5
	s_wait_alu 0xfffd
	v_cndmask_b32_e32 v4, 0, v4, vcc_lo
	v_cmp_ngt_f32_e32 vcc_lo, 0xc2b17218, v6
	s_wait_alu 0xfffd
	s_delay_alu instid0(VALU_DEP_2) | instskip(NEXT) | instid1(VALU_DEP_1)
	v_cndmask_b32_e32 v4, 0x7f800000, v4, vcc_lo
	v_add_f32_e32 v8, 1.0, v4
	s_delay_alu instid0(VALU_DEP_1) | instskip(SKIP_1) | instid1(VALU_DEP_2)
	v_div_scale_f32 v4, null, v8, v8, v6
	v_div_scale_f32 v10, vcc_lo, v6, v8, v6
	v_rcp_f32_e32 v5, v4
	s_delay_alu instid0(TRANS32_DEP_1) | instskip(NEXT) | instid1(VALU_DEP_1)
	v_fma_f32 v9, -v4, v5, 1.0
	v_fmac_f32_e32 v5, v9, v5
	s_delay_alu instid0(VALU_DEP_1) | instskip(NEXT) | instid1(VALU_DEP_1)
	v_mul_f32_e32 v9, v10, v5
	v_fma_f32 v11, -v4, v9, v10
	s_delay_alu instid0(VALU_DEP_1) | instskip(NEXT) | instid1(VALU_DEP_1)
	v_fmac_f32_e32 v9, v11, v5
	v_fma_f32 v4, -v4, v9, v10
	s_wait_alu 0xfffd
	s_delay_alu instid0(VALU_DEP_1) | instskip(SKIP_3) | instid1(VALU_DEP_3)
	v_div_fmas_f32 v9, v4, v5, v9
	v_add_co_u32 v4, vcc_lo, s8, v2
	s_wait_alu 0xfffd
	v_add_co_ci_u32_e64 v5, null, s9, v3, vcc_lo
	v_div_fixup_f32 v6, v9, v8, v6
	v_cmp_le_i64_e32 vcc_lo, s[2:3], v[0:1]
	v_add_co_u32 v2, s0, v2, s4
	s_wait_alu 0xf1ff
	v_add_co_ci_u32_e64 v3, null, 0, v3, s0
	s_wait_loadcnt 0x0
	v_mul_f32_e32 v6, v7, v6
	s_or_b32 s5, vcc_lo, s5
	global_store_b32 v[4:5], v6, off
	s_wait_alu 0xfffe
	s_and_not1_b32 exec_lo, exec_lo, s5
	s_cbranch_execnz .LBB0_2
.LBB0_3:
	s_endpgm
	.section	.rodata,"a",@progbits
	.p2align	6, 0x0
	.amdhsa_kernel _ZN4vllm18act_and_mul_kernelIfTnPFT_RKS1_EXadL_ZNS_11silu_kernelIfEES1_S3_EELb1EEEvPS1_PS2_i
		.amdhsa_group_segment_fixed_size 0
		.amdhsa_private_segment_fixed_size 0
		.amdhsa_kernarg_size 280
		.amdhsa_user_sgpr_count 2
		.amdhsa_user_sgpr_dispatch_ptr 0
		.amdhsa_user_sgpr_queue_ptr 0
		.amdhsa_user_sgpr_kernarg_segment_ptr 1
		.amdhsa_user_sgpr_dispatch_id 0
		.amdhsa_user_sgpr_private_segment_size 0
		.amdhsa_wavefront_size32 1
		.amdhsa_uses_dynamic_stack 0
		.amdhsa_enable_private_segment 0
		.amdhsa_system_sgpr_workgroup_id_x 1
		.amdhsa_system_sgpr_workgroup_id_y 0
		.amdhsa_system_sgpr_workgroup_id_z 0
		.amdhsa_system_sgpr_workgroup_info 0
		.amdhsa_system_vgpr_workitem_id 0
		.amdhsa_next_free_vgpr 12
		.amdhsa_next_free_sgpr 15
		.amdhsa_reserve_vcc 1
		.amdhsa_float_round_mode_32 0
		.amdhsa_float_round_mode_16_64 0
		.amdhsa_float_denorm_mode_32 3
		.amdhsa_float_denorm_mode_16_64 3
		.amdhsa_fp16_overflow 0
		.amdhsa_workgroup_processor_mode 1
		.amdhsa_memory_ordered 1
		.amdhsa_forward_progress 1
		.amdhsa_inst_pref_size 4
		.amdhsa_round_robin_scheduling 0
		.amdhsa_exception_fp_ieee_invalid_op 0
		.amdhsa_exception_fp_denorm_src 0
		.amdhsa_exception_fp_ieee_div_zero 0
		.amdhsa_exception_fp_ieee_overflow 0
		.amdhsa_exception_fp_ieee_underflow 0
		.amdhsa_exception_fp_ieee_inexact 0
		.amdhsa_exception_int_div_zero 0
	.end_amdhsa_kernel
	.section	.text._ZN4vllm18act_and_mul_kernelIfTnPFT_RKS1_EXadL_ZNS_11silu_kernelIfEES1_S3_EELb1EEEvPS1_PS2_i,"axG",@progbits,_ZN4vllm18act_and_mul_kernelIfTnPFT_RKS1_EXadL_ZNS_11silu_kernelIfEES1_S3_EELb1EEEvPS1_PS2_i,comdat
.Lfunc_end0:
	.size	_ZN4vllm18act_and_mul_kernelIfTnPFT_RKS1_EXadL_ZNS_11silu_kernelIfEES1_S3_EELb1EEEvPS1_PS2_i, .Lfunc_end0-_ZN4vllm18act_and_mul_kernelIfTnPFT_RKS1_EXadL_ZNS_11silu_kernelIfEES1_S3_EELb1EEEvPS1_PS2_i
                                        ; -- End function
	.set _ZN4vllm18act_and_mul_kernelIfTnPFT_RKS1_EXadL_ZNS_11silu_kernelIfEES1_S3_EELb1EEEvPS1_PS2_i.num_vgpr, 12
	.set _ZN4vllm18act_and_mul_kernelIfTnPFT_RKS1_EXadL_ZNS_11silu_kernelIfEES1_S3_EELb1EEEvPS1_PS2_i.num_agpr, 0
	.set _ZN4vllm18act_and_mul_kernelIfTnPFT_RKS1_EXadL_ZNS_11silu_kernelIfEES1_S3_EELb1EEEvPS1_PS2_i.numbered_sgpr, 15
	.set _ZN4vllm18act_and_mul_kernelIfTnPFT_RKS1_EXadL_ZNS_11silu_kernelIfEES1_S3_EELb1EEEvPS1_PS2_i.num_named_barrier, 0
	.set _ZN4vllm18act_and_mul_kernelIfTnPFT_RKS1_EXadL_ZNS_11silu_kernelIfEES1_S3_EELb1EEEvPS1_PS2_i.private_seg_size, 0
	.set _ZN4vllm18act_and_mul_kernelIfTnPFT_RKS1_EXadL_ZNS_11silu_kernelIfEES1_S3_EELb1EEEvPS1_PS2_i.uses_vcc, 1
	.set _ZN4vllm18act_and_mul_kernelIfTnPFT_RKS1_EXadL_ZNS_11silu_kernelIfEES1_S3_EELb1EEEvPS1_PS2_i.uses_flat_scratch, 0
	.set _ZN4vllm18act_and_mul_kernelIfTnPFT_RKS1_EXadL_ZNS_11silu_kernelIfEES1_S3_EELb1EEEvPS1_PS2_i.has_dyn_sized_stack, 0
	.set _ZN4vllm18act_and_mul_kernelIfTnPFT_RKS1_EXadL_ZNS_11silu_kernelIfEES1_S3_EELb1EEEvPS1_PS2_i.has_recursion, 0
	.set _ZN4vllm18act_and_mul_kernelIfTnPFT_RKS1_EXadL_ZNS_11silu_kernelIfEES1_S3_EELb1EEEvPS1_PS2_i.has_indirect_call, 0
	.section	.AMDGPU.csdata,"",@progbits
; Kernel info:
; codeLenInByte = 500
; TotalNumSgprs: 17
; NumVgprs: 12
; ScratchSize: 0
; MemoryBound: 0
; FloatMode: 240
; IeeeMode: 1
; LDSByteSize: 0 bytes/workgroup (compile time only)
; SGPRBlocks: 0
; VGPRBlocks: 1
; NumSGPRsForWavesPerEU: 17
; NumVGPRsForWavesPerEU: 12
; Occupancy: 16
; WaveLimiterHint : 0
; COMPUTE_PGM_RSRC2:SCRATCH_EN: 0
; COMPUTE_PGM_RSRC2:USER_SGPR: 2
; COMPUTE_PGM_RSRC2:TRAP_HANDLER: 0
; COMPUTE_PGM_RSRC2:TGID_X_EN: 1
; COMPUTE_PGM_RSRC2:TGID_Y_EN: 0
; COMPUTE_PGM_RSRC2:TGID_Z_EN: 0
; COMPUTE_PGM_RSRC2:TIDIG_COMP_CNT: 0
	.section	.text._ZN4vllm18act_and_mul_kernelIN3c104HalfETnPFT_RKS3_EXadL_ZNS_11silu_kernelIS2_EES3_S5_EELb1EEEvPS3_PS4_i,"axG",@progbits,_ZN4vllm18act_and_mul_kernelIN3c104HalfETnPFT_RKS3_EXadL_ZNS_11silu_kernelIS2_EES3_S5_EELb1EEEvPS3_PS4_i,comdat
	.protected	_ZN4vllm18act_and_mul_kernelIN3c104HalfETnPFT_RKS3_EXadL_ZNS_11silu_kernelIS2_EES3_S5_EELb1EEEvPS3_PS4_i ; -- Begin function _ZN4vllm18act_and_mul_kernelIN3c104HalfETnPFT_RKS3_EXadL_ZNS_11silu_kernelIS2_EES3_S5_EELb1EEEvPS3_PS4_i
	.globl	_ZN4vllm18act_and_mul_kernelIN3c104HalfETnPFT_RKS3_EXadL_ZNS_11silu_kernelIS2_EES3_S5_EELb1EEEvPS3_PS4_i
	.p2align	8
	.type	_ZN4vllm18act_and_mul_kernelIN3c104HalfETnPFT_RKS3_EXadL_ZNS_11silu_kernelIS2_EES3_S5_EELb1EEEvPS3_PS4_i,@function
_ZN4vllm18act_and_mul_kernelIN3c104HalfETnPFT_RKS3_EXadL_ZNS_11silu_kernelIS2_EES3_S5_EELb1EEEvPS3_PS4_i: ; @_ZN4vllm18act_and_mul_kernelIN3c104HalfETnPFT_RKS3_EXadL_ZNS_11silu_kernelIS2_EES3_S5_EELb1EEEvPS3_PS4_i
; %bb.0:
	s_load_b32 s2, s[0:1], 0x10
	s_mov_b32 s3, exec_lo
	s_wait_kmcnt 0x0
	v_cmpx_gt_i32_e64 s2, v0
	s_cbranch_execz .LBB1_8
; %bb.1:
	v_dual_mov_b32 v1, 0 :: v_dual_add_nc_u32 v2, 1, v0
	s_clause 0x1
	s_load_b32 s8, s[0:1], 0x24
	s_load_b128 s[4:7], s[0:1], 0x0
	s_ashr_i32 s3, s2, 31
	v_mov_b32_e32 v3, v1
	s_mov_b32 s10, ttmp9
	s_mov_b32 s11, 0
	s_mov_b32 s0, -1
	s_wait_alu 0xfffe
	s_mul_u64 s[12:13], s[10:11], s[2:3]
	v_cmp_lt_i64_e32 vcc_lo, s[2:3], v[2:3]
	v_cndmask_b32_e32 v2, s2, v2, vcc_lo
	v_cndmask_b32_e64 v3, s3, 0, vcc_lo
	s_delay_alu instid0(VALU_DEP_2) | instskip(SKIP_1) | instid1(VALU_DEP_2)
	v_sub_co_u32 v2, vcc_lo, v2, v0
	s_wait_alu 0xfffd
	v_subrev_co_ci_u32_e64 v3, null, 0, v3, vcc_lo
	s_wait_kmcnt 0x0
	s_and_b32 s14, s8, 0xffff
	s_lshl_b64 s[8:9], s[12:13], 2
	s_cmp_eq_u32 s14, 1
	v_cmp_lt_u64_e32 vcc_lo, 1, v[2:3]
	s_cselect_b32 s1, -1, 0
	s_add_nc_u64 s[8:9], s[6:7], s[8:9]
	s_and_b32 s1, vcc_lo, s1
	s_delay_alu instid0(SALU_CYCLE_1)
	s_and_saveexec_b32 s15, s1
	s_cbranch_execz .LBB1_5
; %bb.2:
	v_lshlrev_b64_e32 v[10:11], 1, v[0:1]
	s_lshl_b64 s[0:1], s[10:11], 2
	s_lshl_b64 s[16:17], s[12:13], 1
	s_or_b32 s0, s0, 2
	s_add_nc_u64 s[16:17], s[4:5], s[16:17]
	s_mul_u64 s[0:1], s[0:1], s[2:3]
	v_add_co_u32 v6, vcc_lo, s16, v10
	s_add_nc_u64 s[0:1], s[6:7], s[0:1]
	v_dual_mov_b32 v5, v3 :: v_dual_and_b32 v4, -2, v2
	s_wait_alu 0xfffd
	v_add_co_ci_u32_e64 v7, null, s17, v11, vcc_lo
	v_add_co_u32 v8, vcc_lo, s0, v10
	s_wait_alu 0xfffd
	v_add_co_ci_u32_e64 v9, null, s1, v11, vcc_lo
	v_add_co_u32 v10, vcc_lo, s8, v10
	s_wait_alu 0xfffd
	v_add_co_ci_u32_e64 v11, null, s9, v11, vcc_lo
	v_dual_mov_b32 v13, v5 :: v_dual_mov_b32 v12, v4
	s_mov_b32 s6, 0x3fb8aa3b
	s_mov_b32 s7, 0x32a5705f
.LBB1_3:                                ; =>This Inner Loop Header: Depth=1
	global_load_b32 v1, v[10:11], off
	global_load_b32 v14, v[8:9], off
	v_add_co_u32 v12, vcc_lo, v12, -2
	s_wait_alu 0xfffd
	v_add_co_ci_u32_e64 v13, null, -1, v13, vcc_lo
	v_add_co_u32 v8, vcc_lo, v8, 4
	s_wait_alu 0xfffd
	v_add_co_ci_u32_e64 v9, null, 0, v9, vcc_lo
	v_add_co_u32 v10, vcc_lo, v10, 4
	s_wait_alu 0xfffd
	v_add_co_ci_u32_e64 v11, null, 0, v11, vcc_lo
	v_cmp_eq_u64_e64 s0, 0, v[12:13]
	s_or_b32 s11, s0, s11
	s_wait_loadcnt 0x1
	v_lshrrev_b32_e32 v15, 16, v1
	v_cvt_f32_f16_e64 v16, -v1
	v_cvt_f32_f16_e32 v17, v1
	s_delay_alu instid0(VALU_DEP_3) | instskip(NEXT) | instid1(VALU_DEP_3)
	v_cvt_f32_f16_e64 v18, -v15
	v_mul_f32_e32 v19, 0x3fb8aa3b, v16
	v_cmp_ngt_f32_e32 vcc_lo, 0xc2ce8ed0, v16
	v_cvt_f32_f16_e32 v15, v15
	s_delay_alu instid0(VALU_DEP_4) | instskip(NEXT) | instid1(VALU_DEP_4)
	v_mul_f32_e32 v20, 0x3fb8aa3b, v18
	v_rndne_f32_e32 v21, v19
	v_fma_mix_f32 v22, -v1, s6, -v19 op_sel_hi:[1,0,0]
	v_cmp_ngt_f32_e64 s1, 0xc2ce8ed0, v18
	s_delay_alu instid0(VALU_DEP_4) | instskip(NEXT) | instid1(VALU_DEP_4)
	v_rndne_f32_e32 v23, v20
	v_sub_f32_e32 v19, v19, v21
	s_delay_alu instid0(VALU_DEP_4) | instskip(SKIP_2) | instid1(VALU_DEP_3)
	v_fma_mix_f32 v22, -v1, s7, v22 op_sel_hi:[1,0,0]
	v_fma_mix_f32 v24, -v1, s6, -v20 op_sel:[1,0,0] op_sel_hi:[1,0,0]
	v_cvt_i32_f32_e32 v21, v21
	v_dual_sub_f32 v20, v20, v23 :: v_dual_add_f32 v19, v19, v22
	s_delay_alu instid0(VALU_DEP_3) | instskip(SKIP_1) | instid1(VALU_DEP_3)
	v_fma_mix_f32 v1, -v1, s7, v24 op_sel:[1,0,0] op_sel_hi:[1,0,0]
	v_cvt_i32_f32_e32 v22, v23
	v_exp_f32_e32 v19, v19
	s_delay_alu instid0(TRANS32_DEP_1) | instskip(SKIP_1) | instid1(VALU_DEP_1)
	v_ldexp_f32 v19, v19, v21
	s_wait_alu 0xfffd
	v_cndmask_b32_e32 v19, 0, v19, vcc_lo
	v_cmp_nlt_f32_e32 vcc_lo, 0x42b17218, v16
	s_wait_alu 0xfffd
	s_delay_alu instid0(VALU_DEP_2) | instskip(NEXT) | instid1(VALU_DEP_1)
	v_dual_add_f32 v1, v20, v1 :: v_dual_cndmask_b32 v16, 0x7f800000, v19
	v_exp_f32_e32 v1, v1
	v_cmp_nlt_f32_e32 vcc_lo, 0x42b17218, v18
	s_delay_alu instid0(VALU_DEP_2) | instskip(NEXT) | instid1(VALU_DEP_1)
	v_add_f32_e32 v16, 1.0, v16
	v_div_scale_f32 v18, null, v16, v16, v17
	s_delay_alu instid0(TRANS32_DEP_1) | instskip(NEXT) | instid1(VALU_DEP_2)
	v_ldexp_f32 v1, v1, v22
	v_rcp_f32_e32 v22, v18
	s_wait_alu 0xf1ff
	s_delay_alu instid0(VALU_DEP_1) | instskip(SKIP_1) | instid1(TRANS32_DEP_1)
	v_cndmask_b32_e64 v1, 0, v1, s1
	v_div_scale_f32 v19, s1, v17, v16, v17
	v_fma_f32 v24, -v18, v22, 1.0
	s_wait_alu 0xfffd
	s_delay_alu instid0(VALU_DEP_1) | instskip(NEXT) | instid1(VALU_DEP_1)
	v_dual_fmac_f32 v22, v24, v22 :: v_dual_cndmask_b32 v1, 0x7f800000, v1
	v_mul_f32_e32 v24, v19, v22
	s_delay_alu instid0(VALU_DEP_1) | instskip(NEXT) | instid1(VALU_DEP_1)
	v_fma_f32 v26, -v18, v24, v19
	v_dual_add_f32 v1, 1.0, v1 :: v_dual_fmac_f32 v24, v26, v22
	s_delay_alu instid0(VALU_DEP_1) | instskip(SKIP_1) | instid1(VALU_DEP_3)
	v_div_scale_f32 v20, null, v1, v1, v15
	v_div_scale_f32 v23, vcc_lo, v15, v1, v15
	v_fma_f32 v18, -v18, v24, v19
	s_delay_alu instid0(VALU_DEP_3) | instskip(NEXT) | instid1(TRANS32_DEP_1)
	v_rcp_f32_e32 v21, v20
	v_fma_f32 v25, -v20, v21, 1.0
	s_delay_alu instid0(VALU_DEP_1) | instskip(NEXT) | instid1(VALU_DEP_1)
	v_fmac_f32_e32 v21, v25, v21
	v_mul_f32_e32 v25, v23, v21
	s_delay_alu instid0(VALU_DEP_1) | instskip(NEXT) | instid1(VALU_DEP_1)
	v_fma_f32 v27, -v20, v25, v23
	v_fmac_f32_e32 v25, v27, v21
	s_delay_alu instid0(VALU_DEP_1) | instskip(SKIP_1) | instid1(VALU_DEP_1)
	v_fma_f32 v19, -v20, v25, v23
	s_wait_alu 0xfffd
	v_div_fmas_f32 v19, v19, v21, v25
	s_mov_b32 vcc_lo, s1
	s_wait_alu 0xfffe
	v_div_fmas_f32 v18, v18, v22, v24
	s_delay_alu instid0(VALU_DEP_2) | instskip(NEXT) | instid1(VALU_DEP_2)
	v_div_fixup_f32 v1, v19, v1, v15
	v_div_fixup_f32 v15, v18, v16, v17
	s_delay_alu instid0(VALU_DEP_2) | instskip(NEXT) | instid1(VALU_DEP_2)
	v_cvt_f16_f32_e32 v1, v1
	v_cvt_f16_f32_e32 v15, v15
	s_delay_alu instid0(VALU_DEP_1) | instskip(SKIP_1) | instid1(VALU_DEP_1)
	v_pack_b32_f16 v1, v15, v1
	s_wait_loadcnt 0x0
	v_pk_mul_f16 v1, v14, v1
	global_store_b32 v[6:7], v1, off
	v_add_co_u32 v6, vcc_lo, v6, 4
	s_wait_alu 0xfffd
	v_add_co_ci_u32_e64 v7, null, 0, v7, vcc_lo
	s_and_not1_b32 exec_lo, exec_lo, s11
	s_cbranch_execnz .LBB1_3
; %bb.4:
	s_or_b32 exec_lo, exec_lo, s11
	v_cmp_ne_u64_e32 vcc_lo, v[2:3], v[4:5]
	v_add_co_u32 v0, s0, v4, v0
	s_wait_alu 0xf1ff
	v_add_co_ci_u32_e64 v1, null, 0, v5, s0
	s_or_not1_b32 s0, vcc_lo, exec_lo
.LBB1_5:
	s_or_b32 exec_lo, exec_lo, s15
	s_wait_alu 0xfffe
	s_and_b32 exec_lo, exec_lo, s0
	s_cbranch_execz .LBB1_8
; %bb.6:
	v_lshlrev_b64_e32 v[2:3], 1, v[0:1]
	s_lshl_b64 s[0:1], s[2:3], 1
	s_lshl_b64 s[10:11], s[12:13], 1
	s_wait_alu 0xfffe
	s_add_nc_u64 s[6:7], s[8:9], s[0:1]
	s_add_nc_u64 s[4:5], s[4:5], s[10:11]
	s_mov_b32 s1, 0
	s_lshl_b32 s10, s14, 1
	s_mov_b32 s11, 0x3fb8aa3b
	s_mov_b32 s12, 0x32a5705f
.LBB1_7:                                ; =>This Inner Loop Header: Depth=1
	v_add_co_u32 v4, vcc_lo, s8, v2
	s_wait_alu 0xfffd
	v_add_co_ci_u32_e64 v5, null, s9, v3, vcc_lo
	global_load_u16 v6, v[4:5], off
	s_wait_alu 0xfffe
	v_add_co_u32 v4, vcc_lo, s6, v2
	s_wait_alu 0xfffd
	v_add_co_ci_u32_e64 v5, null, s7, v3, vcc_lo
	global_load_u16 v7, v[4:5], off
	s_wait_loadcnt 0x1
	v_cvt_f32_f16_e64 v4, -v6
	s_delay_alu instid0(VALU_DEP_1) | instskip(SKIP_1) | instid1(VALU_DEP_2)
	v_mul_f32_e32 v5, 0x3fb8aa3b, v4
	v_cmp_ngt_f32_e32 vcc_lo, 0xc2ce8ed0, v4
	v_fma_mix_f32 v8, -v6, s11, -v5 op_sel_hi:[1,0,0]
	v_rndne_f32_e32 v9, v5
	s_delay_alu instid0(VALU_DEP_2) | instskip(NEXT) | instid1(VALU_DEP_2)
	v_fma_mix_f32 v8, -v6, s12, v8 op_sel_hi:[1,0,0]
	v_sub_f32_e32 v5, v5, v9
	s_delay_alu instid0(VALU_DEP_1) | instskip(SKIP_1) | instid1(VALU_DEP_2)
	v_add_f32_e32 v5, v5, v8
	v_cvt_i32_f32_e32 v8, v9
	v_exp_f32_e32 v5, v5
	s_delay_alu instid0(TRANS32_DEP_1) | instskip(SKIP_1) | instid1(VALU_DEP_1)
	v_ldexp_f32 v5, v5, v8
	s_wait_alu 0xfffd
	v_cndmask_b32_e32 v5, 0, v5, vcc_lo
	v_cmp_nlt_f32_e32 vcc_lo, 0x42b17218, v4
	s_wait_alu 0xfffd
	s_delay_alu instid0(VALU_DEP_2) | instskip(SKIP_1) | instid1(VALU_DEP_2)
	v_cndmask_b32_e32 v4, 0x7f800000, v5, vcc_lo
	v_cvt_f32_f16_e32 v5, v6
	v_add_f32_e32 v4, 1.0, v4
	s_delay_alu instid0(VALU_DEP_1) | instskip(SKIP_1) | instid1(VALU_DEP_2)
	v_div_scale_f32 v6, null, v4, v4, v5
	v_div_scale_f32 v10, vcc_lo, v5, v4, v5
	v_rcp_f32_e32 v8, v6
	s_delay_alu instid0(TRANS32_DEP_1) | instskip(NEXT) | instid1(VALU_DEP_1)
	v_fma_f32 v9, -v6, v8, 1.0
	v_fmac_f32_e32 v8, v9, v8
	s_delay_alu instid0(VALU_DEP_1) | instskip(NEXT) | instid1(VALU_DEP_1)
	v_mul_f32_e32 v9, v10, v8
	v_fma_f32 v11, -v6, v9, v10
	s_delay_alu instid0(VALU_DEP_1) | instskip(NEXT) | instid1(VALU_DEP_1)
	v_fmac_f32_e32 v9, v11, v8
	v_fma_f32 v6, -v6, v9, v10
	s_wait_alu 0xfffd
	s_delay_alu instid0(VALU_DEP_1) | instskip(SKIP_3) | instid1(VALU_DEP_3)
	v_div_fmas_f32 v6, v6, v8, v9
	v_add_co_u32 v0, vcc_lo, v0, s14
	s_wait_alu 0xfffd
	v_add_co_ci_u32_e64 v1, null, 0, v1, vcc_lo
	v_div_fixup_f32 v6, v6, v4, v5
	v_add_co_u32 v4, vcc_lo, s4, v2
	s_wait_alu 0xfffd
	v_add_co_ci_u32_e64 v5, null, s5, v3, vcc_lo
	s_delay_alu instid0(VALU_DEP_3)
	v_cvt_f16_f32_e32 v6, v6
	v_cmp_le_i64_e32 vcc_lo, s[2:3], v[0:1]
	v_add_co_u32 v2, s0, v2, s10
	s_wait_alu 0xf1ff
	v_add_co_ci_u32_e64 v3, null, 0, v3, s0
	s_wait_loadcnt 0x0
	v_mul_f16_e32 v6, v7, v6
	s_or_b32 s1, vcc_lo, s1
	global_store_b16 v[4:5], v6, off
	s_wait_alu 0xfffe
	s_and_not1_b32 exec_lo, exec_lo, s1
	s_cbranch_execnz .LBB1_7
.LBB1_8:
	s_endpgm
	.section	.rodata,"a",@progbits
	.p2align	6, 0x0
	.amdhsa_kernel _ZN4vllm18act_and_mul_kernelIN3c104HalfETnPFT_RKS3_EXadL_ZNS_11silu_kernelIS2_EES3_S5_EELb1EEEvPS3_PS4_i
		.amdhsa_group_segment_fixed_size 0
		.amdhsa_private_segment_fixed_size 0
		.amdhsa_kernarg_size 280
		.amdhsa_user_sgpr_count 2
		.amdhsa_user_sgpr_dispatch_ptr 0
		.amdhsa_user_sgpr_queue_ptr 0
		.amdhsa_user_sgpr_kernarg_segment_ptr 1
		.amdhsa_user_sgpr_dispatch_id 0
		.amdhsa_user_sgpr_private_segment_size 0
		.amdhsa_wavefront_size32 1
		.amdhsa_uses_dynamic_stack 0
		.amdhsa_enable_private_segment 0
		.amdhsa_system_sgpr_workgroup_id_x 1
		.amdhsa_system_sgpr_workgroup_id_y 0
		.amdhsa_system_sgpr_workgroup_id_z 0
		.amdhsa_system_sgpr_workgroup_info 0
		.amdhsa_system_vgpr_workitem_id 0
		.amdhsa_next_free_vgpr 28
		.amdhsa_next_free_sgpr 18
		.amdhsa_reserve_vcc 1
		.amdhsa_float_round_mode_32 0
		.amdhsa_float_round_mode_16_64 0
		.amdhsa_float_denorm_mode_32 3
		.amdhsa_float_denorm_mode_16_64 3
		.amdhsa_fp16_overflow 0
		.amdhsa_workgroup_processor_mode 1
		.amdhsa_memory_ordered 1
		.amdhsa_forward_progress 1
		.amdhsa_inst_pref_size 12
		.amdhsa_round_robin_scheduling 0
		.amdhsa_exception_fp_ieee_invalid_op 0
		.amdhsa_exception_fp_denorm_src 0
		.amdhsa_exception_fp_ieee_div_zero 0
		.amdhsa_exception_fp_ieee_overflow 0
		.amdhsa_exception_fp_ieee_underflow 0
		.amdhsa_exception_fp_ieee_inexact 0
		.amdhsa_exception_int_div_zero 0
	.end_amdhsa_kernel
	.section	.text._ZN4vllm18act_and_mul_kernelIN3c104HalfETnPFT_RKS3_EXadL_ZNS_11silu_kernelIS2_EES3_S5_EELb1EEEvPS3_PS4_i,"axG",@progbits,_ZN4vllm18act_and_mul_kernelIN3c104HalfETnPFT_RKS3_EXadL_ZNS_11silu_kernelIS2_EES3_S5_EELb1EEEvPS3_PS4_i,comdat
.Lfunc_end1:
	.size	_ZN4vllm18act_and_mul_kernelIN3c104HalfETnPFT_RKS3_EXadL_ZNS_11silu_kernelIS2_EES3_S5_EELb1EEEvPS3_PS4_i, .Lfunc_end1-_ZN4vllm18act_and_mul_kernelIN3c104HalfETnPFT_RKS3_EXadL_ZNS_11silu_kernelIS2_EES3_S5_EELb1EEEvPS3_PS4_i
                                        ; -- End function
	.set _ZN4vllm18act_and_mul_kernelIN3c104HalfETnPFT_RKS3_EXadL_ZNS_11silu_kernelIS2_EES3_S5_EELb1EEEvPS3_PS4_i.num_vgpr, 28
	.set _ZN4vllm18act_and_mul_kernelIN3c104HalfETnPFT_RKS3_EXadL_ZNS_11silu_kernelIS2_EES3_S5_EELb1EEEvPS3_PS4_i.num_agpr, 0
	.set _ZN4vllm18act_and_mul_kernelIN3c104HalfETnPFT_RKS3_EXadL_ZNS_11silu_kernelIS2_EES3_S5_EELb1EEEvPS3_PS4_i.numbered_sgpr, 18
	.set _ZN4vllm18act_and_mul_kernelIN3c104HalfETnPFT_RKS3_EXadL_ZNS_11silu_kernelIS2_EES3_S5_EELb1EEEvPS3_PS4_i.num_named_barrier, 0
	.set _ZN4vllm18act_and_mul_kernelIN3c104HalfETnPFT_RKS3_EXadL_ZNS_11silu_kernelIS2_EES3_S5_EELb1EEEvPS3_PS4_i.private_seg_size, 0
	.set _ZN4vllm18act_and_mul_kernelIN3c104HalfETnPFT_RKS3_EXadL_ZNS_11silu_kernelIS2_EES3_S5_EELb1EEEvPS3_PS4_i.uses_vcc, 1
	.set _ZN4vllm18act_and_mul_kernelIN3c104HalfETnPFT_RKS3_EXadL_ZNS_11silu_kernelIS2_EES3_S5_EELb1EEEvPS3_PS4_i.uses_flat_scratch, 0
	.set _ZN4vllm18act_and_mul_kernelIN3c104HalfETnPFT_RKS3_EXadL_ZNS_11silu_kernelIS2_EES3_S5_EELb1EEEvPS3_PS4_i.has_dyn_sized_stack, 0
	.set _ZN4vllm18act_and_mul_kernelIN3c104HalfETnPFT_RKS3_EXadL_ZNS_11silu_kernelIS2_EES3_S5_EELb1EEEvPS3_PS4_i.has_recursion, 0
	.set _ZN4vllm18act_and_mul_kernelIN3c104HalfETnPFT_RKS3_EXadL_ZNS_11silu_kernelIS2_EES3_S5_EELb1EEEvPS3_PS4_i.has_indirect_call, 0
	.section	.AMDGPU.csdata,"",@progbits
; Kernel info:
; codeLenInByte = 1416
; TotalNumSgprs: 20
; NumVgprs: 28
; ScratchSize: 0
; MemoryBound: 0
; FloatMode: 240
; IeeeMode: 1
; LDSByteSize: 0 bytes/workgroup (compile time only)
; SGPRBlocks: 0
; VGPRBlocks: 3
; NumSGPRsForWavesPerEU: 20
; NumVGPRsForWavesPerEU: 28
; Occupancy: 16
; WaveLimiterHint : 0
; COMPUTE_PGM_RSRC2:SCRATCH_EN: 0
; COMPUTE_PGM_RSRC2:USER_SGPR: 2
; COMPUTE_PGM_RSRC2:TRAP_HANDLER: 0
; COMPUTE_PGM_RSRC2:TGID_X_EN: 1
; COMPUTE_PGM_RSRC2:TGID_Y_EN: 0
; COMPUTE_PGM_RSRC2:TGID_Z_EN: 0
; COMPUTE_PGM_RSRC2:TIDIG_COMP_CNT: 0
	.section	.text._ZN4vllm18act_and_mul_kernelIN3c108BFloat16ETnPFT_RKS3_EXadL_ZNS_11silu_kernelIS2_EES3_S5_EELb1EEEvPS3_PS4_i,"axG",@progbits,_ZN4vllm18act_and_mul_kernelIN3c108BFloat16ETnPFT_RKS3_EXadL_ZNS_11silu_kernelIS2_EES3_S5_EELb1EEEvPS3_PS4_i,comdat
	.protected	_ZN4vllm18act_and_mul_kernelIN3c108BFloat16ETnPFT_RKS3_EXadL_ZNS_11silu_kernelIS2_EES3_S5_EELb1EEEvPS3_PS4_i ; -- Begin function _ZN4vllm18act_and_mul_kernelIN3c108BFloat16ETnPFT_RKS3_EXadL_ZNS_11silu_kernelIS2_EES3_S5_EELb1EEEvPS3_PS4_i
	.globl	_ZN4vllm18act_and_mul_kernelIN3c108BFloat16ETnPFT_RKS3_EXadL_ZNS_11silu_kernelIS2_EES3_S5_EELb1EEEvPS3_PS4_i
	.p2align	8
	.type	_ZN4vllm18act_and_mul_kernelIN3c108BFloat16ETnPFT_RKS3_EXadL_ZNS_11silu_kernelIS2_EES3_S5_EELb1EEEvPS3_PS4_i,@function
_ZN4vllm18act_and_mul_kernelIN3c108BFloat16ETnPFT_RKS3_EXadL_ZNS_11silu_kernelIS2_EES3_S5_EELb1EEEvPS3_PS4_i: ; @_ZN4vllm18act_and_mul_kernelIN3c108BFloat16ETnPFT_RKS3_EXadL_ZNS_11silu_kernelIS2_EES3_S5_EELb1EEEvPS3_PS4_i
; %bb.0:
	s_load_b32 s2, s[0:1], 0x10
	s_mov_b32 s3, exec_lo
	s_wait_kmcnt 0x0
	v_cmpx_gt_i32_e64 s2, v0
	s_cbranch_execz .LBB2_8
; %bb.1:
	v_dual_mov_b32 v1, 0 :: v_dual_add_nc_u32 v2, 1, v0
	s_clause 0x1
	s_load_b32 s8, s[0:1], 0x24
	s_load_b128 s[4:7], s[0:1], 0x0
	s_ashr_i32 s3, s2, 31
	v_mov_b32_e32 v3, v1
	s_mov_b32 s10, ttmp9
	s_mov_b32 s11, 0
	s_mov_b32 s0, -1
	s_wait_alu 0xfffe
	s_mul_u64 s[12:13], s[10:11], s[2:3]
	v_cmp_lt_i64_e32 vcc_lo, s[2:3], v[2:3]
	v_cndmask_b32_e32 v2, s2, v2, vcc_lo
	v_cndmask_b32_e64 v3, s3, 0, vcc_lo
	s_delay_alu instid0(VALU_DEP_2) | instskip(SKIP_1) | instid1(VALU_DEP_2)
	v_sub_co_u32 v2, vcc_lo, v2, v0
	s_wait_alu 0xfffd
	v_subrev_co_ci_u32_e64 v3, null, 0, v3, vcc_lo
	s_wait_kmcnt 0x0
	s_and_b32 s14, s8, 0xffff
	s_lshl_b64 s[8:9], s[12:13], 2
	s_cmp_eq_u32 s14, 1
	v_cmp_lt_u64_e32 vcc_lo, 1, v[2:3]
	s_cselect_b32 s1, -1, 0
	s_add_nc_u64 s[8:9], s[6:7], s[8:9]
	s_and_b32 s1, vcc_lo, s1
	s_delay_alu instid0(SALU_CYCLE_1)
	s_and_saveexec_b32 s15, s1
	s_cbranch_execz .LBB2_5
; %bb.2:
	v_lshlrev_b64_e32 v[10:11], 1, v[0:1]
	s_lshl_b64 s[0:1], s[10:11], 2
	s_lshl_b64 s[16:17], s[12:13], 1
	s_or_b32 s0, s0, 2
	s_add_nc_u64 s[16:17], s[4:5], s[16:17]
	s_mul_u64 s[0:1], s[0:1], s[2:3]
	v_add_co_u32 v6, vcc_lo, s16, v10
	s_add_nc_u64 s[0:1], s[6:7], s[0:1]
	v_dual_mov_b32 v5, v3 :: v_dual_and_b32 v4, -2, v2
	s_wait_alu 0xfffd
	v_add_co_ci_u32_e64 v7, null, s17, v11, vcc_lo
	v_add_co_u32 v8, vcc_lo, s0, v10
	s_wait_alu 0xfffd
	v_add_co_ci_u32_e64 v9, null, s1, v11, vcc_lo
	v_add_co_u32 v10, vcc_lo, s8, v10
	s_wait_alu 0xfffd
	v_add_co_ci_u32_e64 v11, null, s9, v11, vcc_lo
	v_dual_mov_b32 v13, v5 :: v_dual_mov_b32 v12, v4
.LBB2_3:                                ; =>This Inner Loop Header: Depth=1
	global_load_b32 v1, v[10:11], off
	global_load_b32 v14, v[8:9], off
	v_add_co_u32 v12, vcc_lo, v12, -2
	s_wait_alu 0xfffd
	v_add_co_ci_u32_e64 v13, null, -1, v13, vcc_lo
	v_add_co_u32 v8, vcc_lo, v8, 4
	s_wait_alu 0xfffd
	v_add_co_ci_u32_e64 v9, null, 0, v9, vcc_lo
	v_add_co_u32 v10, vcc_lo, v10, 4
	s_wait_alu 0xfffd
	v_add_co_ci_u32_e64 v11, null, 0, v11, vcc_lo
	v_cmp_eq_u64_e64 s0, 0, v[12:13]
	s_or_b32 s11, s0, s11
	s_wait_loadcnt 0x1
	v_lshlrev_b32_e32 v15, 16, v1
	v_and_b32_e32 v1, 0xffff0000, v1
	s_delay_alu instid0(VALU_DEP_1) | instskip(SKIP_1) | instid1(VALU_DEP_2)
	v_xor_b32_e32 v18, 0x80000000, v1
	v_cmp_o_f32_e32 vcc_lo, v1, v1
	v_lshrrev_b32_e32 v20, 16, v18
	s_delay_alu instid0(VALU_DEP_1) | instskip(NEXT) | instid1(VALU_DEP_1)
	v_and_b32_e32 v20, 1, v20
	v_add3_u32 v18, v18, v20, 0x7fff
	s_delay_alu instid0(VALU_DEP_1) | instskip(SKIP_1) | instid1(VALU_DEP_1)
	v_and_b32_e32 v18, 0xffff0000, v18
	s_wait_alu 0xfffd
	v_cndmask_b32_e32 v18, 0x7fc00000, v18, vcc_lo
	v_xor_b32_e32 v17, 0x80000000, v15
	v_cmp_o_f32_e64 s1, v15, v15
	s_delay_alu instid0(VALU_DEP_3) | instskip(NEXT) | instid1(VALU_DEP_3)
	v_cmp_ngt_f32_e32 vcc_lo, 0xc2ce8ed0, v18
	v_lshrrev_b32_e32 v19, 16, v17
	s_delay_alu instid0(VALU_DEP_1) | instskip(NEXT) | instid1(VALU_DEP_1)
	v_dual_mul_f32 v20, 0x3fb8aa3b, v18 :: v_dual_and_b32 v19, 1, v19
	v_fma_f32 v23, 0x3fb8aa3b, v18, -v20
	v_rndne_f32_e32 v24, v20
	s_delay_alu instid0(VALU_DEP_3) | instskip(NEXT) | instid1(VALU_DEP_2)
	v_add3_u32 v17, v17, v19, 0x7fff
	v_dual_fmac_f32 v23, 0x32a5705f, v18 :: v_dual_sub_f32 v20, v20, v24
	s_delay_alu instid0(VALU_DEP_1) | instskip(SKIP_1) | instid1(VALU_DEP_1)
	v_dual_add_f32 v20, v20, v23 :: v_dual_and_b32 v17, 0xffff0000, v17
	s_wait_alu 0xf1ff
	v_cndmask_b32_e64 v17, 0x7fc00000, v17, s1
	s_delay_alu instid0(VALU_DEP_2) | instskip(NEXT) | instid1(VALU_DEP_1)
	v_exp_f32_e32 v20, v20
	v_mul_f32_e32 v19, 0x3fb8aa3b, v17
	v_cmp_ngt_f32_e64 s1, 0xc2ce8ed0, v17
	s_delay_alu instid0(VALU_DEP_2) | instskip(SKIP_1) | instid1(VALU_DEP_2)
	v_fma_f32 v21, 0x3fb8aa3b, v17, -v19
	v_rndne_f32_e32 v22, v19
	v_fmac_f32_e32 v21, 0x32a5705f, v17
	s_delay_alu instid0(VALU_DEP_2) | instskip(SKIP_3) | instid1(VALU_DEP_3)
	v_sub_f32_e32 v19, v19, v22
	s_wait_loadcnt 0x0
	v_and_b32_e32 v16, 0xffff0000, v14
	v_cvt_i32_f32_e32 v22, v22
	v_add_f32_e32 v19, v19, v21
	v_cvt_i32_f32_e32 v21, v24
	s_delay_alu instid0(VALU_DEP_2) | instskip(NEXT) | instid1(VALU_DEP_1)
	v_exp_f32_e32 v19, v19
	v_ldexp_f32 v20, v20, v21
	s_wait_alu 0xfffd
	s_delay_alu instid0(VALU_DEP_1) | instskip(SKIP_1) | instid1(TRANS32_DEP_1)
	v_cndmask_b32_e32 v20, 0, v20, vcc_lo
	v_cmp_nlt_f32_e32 vcc_lo, 0x42b17218, v18
	v_ldexp_f32 v19, v19, v22
	s_wait_alu 0xfffd
	s_delay_alu instid0(VALU_DEP_3) | instskip(SKIP_1) | instid1(VALU_DEP_2)
	v_cndmask_b32_e32 v18, 0x7f800000, v20, vcc_lo
	s_wait_alu 0xf1ff
	v_cndmask_b32_e64 v19, 0, v19, s1
	v_cmp_nlt_f32_e64 s1, 0x42b17218, v17
	s_wait_alu 0xf1ff
	s_delay_alu instid0(VALU_DEP_1) | instskip(NEXT) | instid1(VALU_DEP_1)
	v_cndmask_b32_e64 v17, 0x7f800000, v19, s1
	v_dual_add_f32 v17, 1.0, v17 :: v_dual_lshlrev_b32 v14, 16, v14
	s_delay_alu instid0(VALU_DEP_1) | instskip(SKIP_1) | instid1(VALU_DEP_2)
	v_div_scale_f32 v19, null, v17, v17, v15
	v_div_scale_f32 v21, vcc_lo, v15, v17, v15
	v_rcp_f32_e32 v22, v19
	s_delay_alu instid0(TRANS32_DEP_1) | instskip(NEXT) | instid1(VALU_DEP_1)
	v_fma_f32 v25, -v19, v22, 1.0
	v_fmac_f32_e32 v22, v25, v22
	s_delay_alu instid0(VALU_DEP_1) | instskip(NEXT) | instid1(VALU_DEP_1)
	v_mul_f32_e32 v25, v21, v22
	v_fma_f32 v27, -v19, v25, v21
	s_delay_alu instid0(VALU_DEP_1) | instskip(NEXT) | instid1(VALU_DEP_1)
	v_fmac_f32_e32 v25, v27, v22
	v_fma_f32 v19, -v19, v25, v21
	s_wait_alu 0xfffd
	s_delay_alu instid0(VALU_DEP_1) | instskip(NEXT) | instid1(VALU_DEP_1)
	v_div_fmas_f32 v19, v19, v22, v25
	v_div_fixup_f32 v15, v19, v17, v15
	s_delay_alu instid0(VALU_DEP_1) | instskip(NEXT) | instid1(VALU_DEP_1)
	v_lshrrev_b32_e32 v17, 16, v15
	v_dual_add_f32 v18, 1.0, v18 :: v_dual_and_b32 v17, 1, v17
	s_delay_alu instid0(VALU_DEP_1) | instskip(SKIP_4) | instid1(VALU_DEP_1)
	v_div_scale_f32 v20, null, v18, v18, v1
	v_div_scale_f32 v24, s1, v1, v18, v1
	s_mov_b32 vcc_lo, s1
	v_rcp_f32_e32 v23, v20
	v_add3_u32 v17, v15, v17, 0x7fff
	v_and_b32_e32 v17, 0xffff0000, v17
	s_delay_alu instid0(TRANS32_DEP_1) | instskip(NEXT) | instid1(VALU_DEP_1)
	v_fma_f32 v26, -v20, v23, 1.0
	v_fmac_f32_e32 v23, v26, v23
	s_delay_alu instid0(VALU_DEP_1) | instskip(NEXT) | instid1(VALU_DEP_1)
	v_mul_f32_e32 v26, v24, v23
	v_fma_f32 v28, -v20, v26, v24
	s_delay_alu instid0(VALU_DEP_1) | instskip(NEXT) | instid1(VALU_DEP_1)
	v_fmac_f32_e32 v26, v28, v23
	v_fma_f32 v20, -v20, v26, v24
	s_wait_alu 0xfffe
	s_delay_alu instid0(VALU_DEP_1) | instskip(SKIP_1) | instid1(VALU_DEP_2)
	v_div_fmas_f32 v20, v20, v23, v26
	v_cmp_o_f32_e32 vcc_lo, v15, v15
	v_div_fixup_f32 v1, v20, v18, v1
	s_delay_alu instid0(VALU_DEP_1) | instskip(SKIP_1) | instid1(VALU_DEP_2)
	v_lshrrev_b32_e32 v18, 16, v1
	v_cmp_o_f32_e64 s1, v1, v1
	v_and_b32_e32 v18, 1, v18
	s_delay_alu instid0(VALU_DEP_1) | instskip(SKIP_2) | instid1(VALU_DEP_2)
	v_add3_u32 v18, v1, v18, 0x7fff
	s_wait_alu 0xfffd
	v_cndmask_b32_e32 v1, 0x7fc00000, v17, vcc_lo
	v_and_b32_e32 v15, 0xffff0000, v18
	s_delay_alu instid0(VALU_DEP_2) | instskip(SKIP_1) | instid1(VALU_DEP_2)
	v_mul_f32_e32 v1, v1, v14
	s_wait_alu 0xf1ff
	v_cndmask_b32_e64 v15, 0x7fc00000, v15, s1
	s_delay_alu instid0(VALU_DEP_1) | instskip(NEXT) | instid1(VALU_DEP_1)
	v_mul_f32_e32 v14, v15, v16
	v_lshrrev_b32_e32 v16, 16, v14
	v_cmp_o_f32_e64 s1, v14, v14
	s_delay_alu instid0(VALU_DEP_2) | instskip(SKIP_2) | instid1(VALU_DEP_3)
	v_and_b32_e32 v16, 1, v16
	v_lshrrev_b32_e32 v15, 16, v1
	v_cmp_o_f32_e32 vcc_lo, v1, v1
	v_add3_u32 v16, v14, v16, 0x7fff
	s_delay_alu instid0(VALU_DEP_3) | instskip(NEXT) | instid1(VALU_DEP_1)
	v_and_b32_e32 v15, 1, v15
	v_add3_u32 v15, v1, v15, 0x7fff
	s_delay_alu instid0(VALU_DEP_3) | instskip(NEXT) | instid1(VALU_DEP_2)
	v_lshrrev_b32_e32 v1, 16, v16
	v_lshrrev_b32_e32 v15, 16, v15
	s_wait_alu 0xf1ff
	s_delay_alu instid0(VALU_DEP_2) | instskip(SKIP_1) | instid1(VALU_DEP_2)
	v_cndmask_b32_e64 v1, 0x7fc0, v1, s1
	s_wait_alu 0xfffd
	v_cndmask_b32_e32 v14, 0x7fc0, v15, vcc_lo
	s_delay_alu instid0(VALU_DEP_1)
	v_perm_b32 v1, v1, v14, 0x5040100
	global_store_b32 v[6:7], v1, off
	v_add_co_u32 v6, vcc_lo, v6, 4
	s_wait_alu 0xfffd
	v_add_co_ci_u32_e64 v7, null, 0, v7, vcc_lo
	s_and_not1_b32 exec_lo, exec_lo, s11
	s_cbranch_execnz .LBB2_3
; %bb.4:
	s_or_b32 exec_lo, exec_lo, s11
	v_cmp_ne_u64_e32 vcc_lo, v[2:3], v[4:5]
	v_add_co_u32 v0, s0, v4, v0
	s_wait_alu 0xf1ff
	v_add_co_ci_u32_e64 v1, null, 0, v5, s0
	s_or_not1_b32 s0, vcc_lo, exec_lo
.LBB2_5:
	s_or_b32 exec_lo, exec_lo, s15
	s_wait_alu 0xfffe
	s_and_b32 exec_lo, exec_lo, s0
	s_cbranch_execz .LBB2_8
; %bb.6:
	v_lshlrev_b64_e32 v[2:3], 1, v[0:1]
	s_lshl_b64 s[0:1], s[2:3], 1
	s_lshl_b64 s[10:11], s[12:13], 1
	s_wait_alu 0xfffe
	s_add_nc_u64 s[6:7], s[8:9], s[0:1]
	s_add_nc_u64 s[4:5], s[4:5], s[10:11]
	s_mov_b32 s10, 0
	s_lshl_b32 s11, s14, 1
.LBB2_7:                                ; =>This Inner Loop Header: Depth=1
	v_add_co_u32 v4, vcc_lo, s8, v2
	s_wait_alu 0xfffd
	v_add_co_ci_u32_e64 v5, null, s9, v3, vcc_lo
	global_load_u16 v6, v[4:5], off
	v_add_co_u32 v4, vcc_lo, s6, v2
	s_wait_alu 0xfffd
	v_add_co_ci_u32_e64 v5, null, s7, v3, vcc_lo
	global_load_u16 v4, v[4:5], off
	s_wait_loadcnt 0x1
	v_lshlrev_b32_e32 v5, 16, v6
	s_delay_alu instid0(VALU_DEP_1) | instskip(SKIP_1) | instid1(VALU_DEP_2)
	v_xor_b32_e32 v6, 0x80000000, v5
	v_cmp_o_f32_e32 vcc_lo, v5, v5
	v_bfe_u32 v7, v6, 16, 1
	s_delay_alu instid0(VALU_DEP_1) | instskip(NEXT) | instid1(VALU_DEP_1)
	v_add3_u32 v6, v6, v7, 0x7fff
	v_and_b32_e32 v6, 0xffff0000, v6
	s_wait_alu 0xfffd
	s_delay_alu instid0(VALU_DEP_1) | instskip(NEXT) | instid1(VALU_DEP_1)
	v_cndmask_b32_e32 v6, 0x7fc00000, v6, vcc_lo
	v_mul_f32_e32 v7, 0x3fb8aa3b, v6
	s_delay_alu instid0(VALU_DEP_1) | instskip(SKIP_1) | instid1(VALU_DEP_1)
	v_fma_f32 v8, 0x3fb8aa3b, v6, -v7
	v_rndne_f32_e32 v9, v7
	v_dual_fmac_f32 v8, 0x32a5705f, v6 :: v_dual_sub_f32 v7, v7, v9
	s_delay_alu instid0(VALU_DEP_1) | instskip(SKIP_2) | instid1(VALU_DEP_3)
	v_add_f32_e32 v7, v7, v8
	v_cvt_i32_f32_e32 v8, v9
	v_cmp_ngt_f32_e32 vcc_lo, 0xc2ce8ed0, v6
	v_exp_f32_e32 v7, v7
	s_delay_alu instid0(TRANS32_DEP_1) | instskip(SKIP_1) | instid1(VALU_DEP_1)
	v_ldexp_f32 v7, v7, v8
	s_wait_alu 0xfffd
	v_cndmask_b32_e32 v7, 0, v7, vcc_lo
	v_cmp_nlt_f32_e32 vcc_lo, 0x42b17218, v6
	s_wait_alu 0xfffd
	s_delay_alu instid0(VALU_DEP_2) | instskip(NEXT) | instid1(VALU_DEP_1)
	v_cndmask_b32_e32 v6, 0x7f800000, v7, vcc_lo
	v_add_f32_e32 v6, 1.0, v6
	s_delay_alu instid0(VALU_DEP_1) | instskip(SKIP_1) | instid1(VALU_DEP_2)
	v_div_scale_f32 v7, null, v6, v6, v5
	v_div_scale_f32 v10, vcc_lo, v5, v6, v5
	v_rcp_f32_e32 v8, v7
	s_delay_alu instid0(TRANS32_DEP_1) | instskip(NEXT) | instid1(VALU_DEP_1)
	v_fma_f32 v9, -v7, v8, 1.0
	v_fmac_f32_e32 v8, v9, v8
	s_delay_alu instid0(VALU_DEP_1) | instskip(NEXT) | instid1(VALU_DEP_1)
	v_mul_f32_e32 v9, v10, v8
	v_fma_f32 v11, -v7, v9, v10
	s_delay_alu instid0(VALU_DEP_1) | instskip(NEXT) | instid1(VALU_DEP_1)
	v_fmac_f32_e32 v9, v11, v8
	v_fma_f32 v7, -v7, v9, v10
	s_wait_alu 0xfffd
	s_delay_alu instid0(VALU_DEP_1) | instskip(NEXT) | instid1(VALU_DEP_1)
	v_div_fmas_f32 v7, v7, v8, v9
	v_div_fixup_f32 v5, v7, v6, v5
	s_delay_alu instid0(VALU_DEP_1) | instskip(SKIP_1) | instid1(VALU_DEP_2)
	v_bfe_u32 v6, v5, 16, 1
	v_cmp_o_f32_e32 vcc_lo, v5, v5
	v_add3_u32 v6, v5, v6, 0x7fff
	s_delay_alu instid0(VALU_DEP_1) | instskip(SKIP_2) | instid1(VALU_DEP_1)
	v_and_b32_e32 v6, 0xffff0000, v6
	s_wait_loadcnt 0x0
	s_wait_alu 0xfffd
	v_dual_cndmask_b32 v5, 0x7fc00000, v6 :: v_dual_lshlrev_b32 v4, 16, v4
	v_add_co_u32 v0, vcc_lo, v0, s14
	s_wait_alu 0xfffd
	v_add_co_ci_u32_e64 v1, null, 0, v1, vcc_lo
	s_delay_alu instid0(VALU_DEP_3) | instskip(NEXT) | instid1(VALU_DEP_2)
	v_mul_f32_e32 v6, v5, v4
	v_cmp_le_i64_e64 s0, s[2:3], v[0:1]
	s_delay_alu instid0(VALU_DEP_2)
	v_bfe_u32 v4, v6, 16, 1
	v_cmp_o_f32_e64 s1, v6, v6
	s_or_b32 s10, s0, s10
	v_add3_u32 v7, v6, v4, 0x7fff
	v_add_co_u32 v4, vcc_lo, s4, v2
	s_wait_alu 0xfffd
	v_add_co_ci_u32_e64 v5, null, s5, v3, vcc_lo
	s_delay_alu instid0(VALU_DEP_3) | instskip(SKIP_3) | instid1(VALU_DEP_3)
	v_lshrrev_b32_e32 v7, 16, v7
	v_add_co_u32 v2, vcc_lo, v2, s11
	s_wait_alu 0xfffd
	v_add_co_ci_u32_e64 v3, null, 0, v3, vcc_lo
	v_cndmask_b32_e64 v6, 0x7fc0, v7, s1
	global_store_b16 v[4:5], v6, off
	s_wait_alu 0xfffe
	s_and_not1_b32 exec_lo, exec_lo, s10
	s_cbranch_execnz .LBB2_7
.LBB2_8:
	s_endpgm
	.section	.rodata,"a",@progbits
	.p2align	6, 0x0
	.amdhsa_kernel _ZN4vllm18act_and_mul_kernelIN3c108BFloat16ETnPFT_RKS3_EXadL_ZNS_11silu_kernelIS2_EES3_S5_EELb1EEEvPS3_PS4_i
		.amdhsa_group_segment_fixed_size 0
		.amdhsa_private_segment_fixed_size 0
		.amdhsa_kernarg_size 280
		.amdhsa_user_sgpr_count 2
		.amdhsa_user_sgpr_dispatch_ptr 0
		.amdhsa_user_sgpr_queue_ptr 0
		.amdhsa_user_sgpr_kernarg_segment_ptr 1
		.amdhsa_user_sgpr_dispatch_id 0
		.amdhsa_user_sgpr_private_segment_size 0
		.amdhsa_wavefront_size32 1
		.amdhsa_uses_dynamic_stack 0
		.amdhsa_enable_private_segment 0
		.amdhsa_system_sgpr_workgroup_id_x 1
		.amdhsa_system_sgpr_workgroup_id_y 0
		.amdhsa_system_sgpr_workgroup_id_z 0
		.amdhsa_system_sgpr_workgroup_info 0
		.amdhsa_system_vgpr_workitem_id 0
		.amdhsa_next_free_vgpr 29
		.amdhsa_next_free_sgpr 18
		.amdhsa_reserve_vcc 1
		.amdhsa_float_round_mode_32 0
		.amdhsa_float_round_mode_16_64 0
		.amdhsa_float_denorm_mode_32 3
		.amdhsa_float_denorm_mode_16_64 3
		.amdhsa_fp16_overflow 0
		.amdhsa_workgroup_processor_mode 1
		.amdhsa_memory_ordered 1
		.amdhsa_forward_progress 1
		.amdhsa_inst_pref_size 15
		.amdhsa_round_robin_scheduling 0
		.amdhsa_exception_fp_ieee_invalid_op 0
		.amdhsa_exception_fp_denorm_src 0
		.amdhsa_exception_fp_ieee_div_zero 0
		.amdhsa_exception_fp_ieee_overflow 0
		.amdhsa_exception_fp_ieee_underflow 0
		.amdhsa_exception_fp_ieee_inexact 0
		.amdhsa_exception_int_div_zero 0
	.end_amdhsa_kernel
	.section	.text._ZN4vllm18act_and_mul_kernelIN3c108BFloat16ETnPFT_RKS3_EXadL_ZNS_11silu_kernelIS2_EES3_S5_EELb1EEEvPS3_PS4_i,"axG",@progbits,_ZN4vllm18act_and_mul_kernelIN3c108BFloat16ETnPFT_RKS3_EXadL_ZNS_11silu_kernelIS2_EES3_S5_EELb1EEEvPS3_PS4_i,comdat
.Lfunc_end2:
	.size	_ZN4vllm18act_and_mul_kernelIN3c108BFloat16ETnPFT_RKS3_EXadL_ZNS_11silu_kernelIS2_EES3_S5_EELb1EEEvPS3_PS4_i, .Lfunc_end2-_ZN4vllm18act_and_mul_kernelIN3c108BFloat16ETnPFT_RKS3_EXadL_ZNS_11silu_kernelIS2_EES3_S5_EELb1EEEvPS3_PS4_i
                                        ; -- End function
	.set _ZN4vllm18act_and_mul_kernelIN3c108BFloat16ETnPFT_RKS3_EXadL_ZNS_11silu_kernelIS2_EES3_S5_EELb1EEEvPS3_PS4_i.num_vgpr, 29
	.set _ZN4vllm18act_and_mul_kernelIN3c108BFloat16ETnPFT_RKS3_EXadL_ZNS_11silu_kernelIS2_EES3_S5_EELb1EEEvPS3_PS4_i.num_agpr, 0
	.set _ZN4vllm18act_and_mul_kernelIN3c108BFloat16ETnPFT_RKS3_EXadL_ZNS_11silu_kernelIS2_EES3_S5_EELb1EEEvPS3_PS4_i.numbered_sgpr, 18
	.set _ZN4vllm18act_and_mul_kernelIN3c108BFloat16ETnPFT_RKS3_EXadL_ZNS_11silu_kernelIS2_EES3_S5_EELb1EEEvPS3_PS4_i.num_named_barrier, 0
	.set _ZN4vllm18act_and_mul_kernelIN3c108BFloat16ETnPFT_RKS3_EXadL_ZNS_11silu_kernelIS2_EES3_S5_EELb1EEEvPS3_PS4_i.private_seg_size, 0
	.set _ZN4vllm18act_and_mul_kernelIN3c108BFloat16ETnPFT_RKS3_EXadL_ZNS_11silu_kernelIS2_EES3_S5_EELb1EEEvPS3_PS4_i.uses_vcc, 1
	.set _ZN4vllm18act_and_mul_kernelIN3c108BFloat16ETnPFT_RKS3_EXadL_ZNS_11silu_kernelIS2_EES3_S5_EELb1EEEvPS3_PS4_i.uses_flat_scratch, 0
	.set _ZN4vllm18act_and_mul_kernelIN3c108BFloat16ETnPFT_RKS3_EXadL_ZNS_11silu_kernelIS2_EES3_S5_EELb1EEEvPS3_PS4_i.has_dyn_sized_stack, 0
	.set _ZN4vllm18act_and_mul_kernelIN3c108BFloat16ETnPFT_RKS3_EXadL_ZNS_11silu_kernelIS2_EES3_S5_EELb1EEEvPS3_PS4_i.has_recursion, 0
	.set _ZN4vllm18act_and_mul_kernelIN3c108BFloat16ETnPFT_RKS3_EXadL_ZNS_11silu_kernelIS2_EES3_S5_EELb1EEEvPS3_PS4_i.has_indirect_call, 0
	.section	.AMDGPU.csdata,"",@progbits
; Kernel info:
; codeLenInByte = 1904
; TotalNumSgprs: 20
; NumVgprs: 29
; ScratchSize: 0
; MemoryBound: 0
; FloatMode: 240
; IeeeMode: 1
; LDSByteSize: 0 bytes/workgroup (compile time only)
; SGPRBlocks: 0
; VGPRBlocks: 3
; NumSGPRsForWavesPerEU: 20
; NumVGPRsForWavesPerEU: 29
; Occupancy: 16
; WaveLimiterHint : 0
; COMPUTE_PGM_RSRC2:SCRATCH_EN: 0
; COMPUTE_PGM_RSRC2:USER_SGPR: 2
; COMPUTE_PGM_RSRC2:TRAP_HANDLER: 0
; COMPUTE_PGM_RSRC2:TGID_X_EN: 1
; COMPUTE_PGM_RSRC2:TGID_Y_EN: 0
; COMPUTE_PGM_RSRC2:TGID_Z_EN: 0
; COMPUTE_PGM_RSRC2:TIDIG_COMP_CNT: 0
	.section	.text._ZN4vllm18act_and_mul_kernelIfTnPFT_RKS1_EXadL_ZNS_11silu_kernelIfEES1_S3_EELb0EEEvPS1_PS2_i,"axG",@progbits,_ZN4vllm18act_and_mul_kernelIfTnPFT_RKS1_EXadL_ZNS_11silu_kernelIfEES1_S3_EELb0EEEvPS1_PS2_i,comdat
	.protected	_ZN4vllm18act_and_mul_kernelIfTnPFT_RKS1_EXadL_ZNS_11silu_kernelIfEES1_S3_EELb0EEEvPS1_PS2_i ; -- Begin function _ZN4vllm18act_and_mul_kernelIfTnPFT_RKS1_EXadL_ZNS_11silu_kernelIfEES1_S3_EELb0EEEvPS1_PS2_i
	.globl	_ZN4vllm18act_and_mul_kernelIfTnPFT_RKS1_EXadL_ZNS_11silu_kernelIfEES1_S3_EELb0EEEvPS1_PS2_i
	.p2align	8
	.type	_ZN4vllm18act_and_mul_kernelIfTnPFT_RKS1_EXadL_ZNS_11silu_kernelIfEES1_S3_EELb0EEEvPS1_PS2_i,@function
_ZN4vllm18act_and_mul_kernelIfTnPFT_RKS1_EXadL_ZNS_11silu_kernelIfEES1_S3_EELb0EEEvPS1_PS2_i: ; @_ZN4vllm18act_and_mul_kernelIfTnPFT_RKS1_EXadL_ZNS_11silu_kernelIfEES1_S3_EELb0EEEvPS1_PS2_i
; %bb.0:
	s_load_b32 s2, s[0:1], 0x10
	s_mov_b32 s3, exec_lo
	s_wait_kmcnt 0x0
	v_cmpx_gt_i32_e64 s2, v0
	s_cbranch_execz .LBB3_3
; %bb.1:
	s_clause 0x1
	s_load_b128 s[8:11], s[0:1], 0x0
	s_load_b32 s14, s[0:1], 0x24
	s_mov_b32 s4, ttmp9
	s_ashr_i32 s3, s2, 31
	s_mov_b32 s5, 0
	v_dual_mov_b32 v1, 0 :: v_dual_lshlrev_b32 v2, 2, v0
	s_wait_alu 0xfffe
	s_mul_u64 s[0:1], s[4:5], s[2:3]
	s_lshl_b64 s[12:13], s[2:3], 2
	s_lshl_b64 s[6:7], s[0:1], 3
	;; [unrolled: 1-line block ×3, first 2 shown]
	v_mov_b32_e32 v3, v1
	s_wait_kmcnt 0x0
	s_add_nc_u64 s[6:7], s[10:11], s[6:7]
	s_add_nc_u64 s[8:9], s[8:9], s[0:1]
	s_and_b32 s1, s14, 0xffff
	s_add_nc_u64 s[10:11], s[6:7], s[12:13]
	s_lshl_b32 s4, s1, 2
.LBB3_2:                                ; =>This Inner Loop Header: Depth=1
	v_add_co_u32 v4, vcc_lo, s10, v2
	s_wait_alu 0xfffd
	v_add_co_ci_u32_e64 v5, null, s11, v3, vcc_lo
	v_add_co_u32 v6, vcc_lo, s6, v2
	s_wait_alu 0xfffd
	v_add_co_ci_u32_e64 v7, null, s7, v3, vcc_lo
	s_clause 0x1
	global_load_b32 v8, v[4:5], off
	global_load_b32 v6, v[6:7], off
	v_add_co_u32 v0, s0, v0, s1
	s_wait_alu 0xf1ff
	v_add_co_ci_u32_e64 v1, null, 0, v1, s0
	s_wait_loadcnt 0x1
	v_mul_f32_e32 v4, 0xbfb8aa3b, v8
	v_cmp_nlt_f32_e32 vcc_lo, 0x42ce8ed0, v8
	s_delay_alu instid0(VALU_DEP_2) | instskip(SKIP_1) | instid1(VALU_DEP_1)
	v_fma_f32 v5, 0xbfb8aa3b, v8, -v4
	v_rndne_f32_e32 v7, v4
	v_dual_fmac_f32 v5, 0xb2a5705f, v8 :: v_dual_sub_f32 v4, v4, v7
	s_delay_alu instid0(VALU_DEP_1) | instskip(SKIP_1) | instid1(VALU_DEP_2)
	v_add_f32_e32 v4, v4, v5
	v_cvt_i32_f32_e32 v5, v7
	v_exp_f32_e32 v4, v4
	s_delay_alu instid0(TRANS32_DEP_1) | instskip(SKIP_1) | instid1(VALU_DEP_1)
	v_ldexp_f32 v4, v4, v5
	s_wait_alu 0xfffd
	v_cndmask_b32_e32 v4, 0, v4, vcc_lo
	v_cmp_ngt_f32_e32 vcc_lo, 0xc2b17218, v8
	s_wait_alu 0xfffd
	s_delay_alu instid0(VALU_DEP_2) | instskip(NEXT) | instid1(VALU_DEP_1)
	v_cndmask_b32_e32 v4, 0x7f800000, v4, vcc_lo
	v_add_f32_e32 v7, 1.0, v4
	s_delay_alu instid0(VALU_DEP_1) | instskip(SKIP_1) | instid1(VALU_DEP_2)
	v_div_scale_f32 v4, null, v7, v7, v8
	v_div_scale_f32 v10, vcc_lo, v8, v7, v8
	v_rcp_f32_e32 v5, v4
	s_delay_alu instid0(TRANS32_DEP_1) | instskip(NEXT) | instid1(VALU_DEP_1)
	v_fma_f32 v9, -v4, v5, 1.0
	v_fmac_f32_e32 v5, v9, v5
	s_delay_alu instid0(VALU_DEP_1) | instskip(NEXT) | instid1(VALU_DEP_1)
	v_mul_f32_e32 v9, v10, v5
	v_fma_f32 v11, -v4, v9, v10
	s_delay_alu instid0(VALU_DEP_1) | instskip(NEXT) | instid1(VALU_DEP_1)
	v_fmac_f32_e32 v9, v11, v5
	v_fma_f32 v4, -v4, v9, v10
	s_wait_alu 0xfffd
	s_delay_alu instid0(VALU_DEP_1) | instskip(SKIP_3) | instid1(VALU_DEP_3)
	v_div_fmas_f32 v9, v4, v5, v9
	v_add_co_u32 v4, vcc_lo, s8, v2
	s_wait_alu 0xfffd
	v_add_co_ci_u32_e64 v5, null, s9, v3, vcc_lo
	v_div_fixup_f32 v7, v9, v7, v8
	v_cmp_le_i64_e32 vcc_lo, s[2:3], v[0:1]
	v_add_co_u32 v2, s0, v2, s4
	s_wait_alu 0xf1ff
	v_add_co_ci_u32_e64 v3, null, 0, v3, s0
	s_wait_loadcnt 0x0
	v_mul_f32_e32 v6, v6, v7
	s_or_b32 s5, vcc_lo, s5
	global_store_b32 v[4:5], v6, off
	s_wait_alu 0xfffe
	s_and_not1_b32 exec_lo, exec_lo, s5
	s_cbranch_execnz .LBB3_2
.LBB3_3:
	s_endpgm
	.section	.rodata,"a",@progbits
	.p2align	6, 0x0
	.amdhsa_kernel _ZN4vllm18act_and_mul_kernelIfTnPFT_RKS1_EXadL_ZNS_11silu_kernelIfEES1_S3_EELb0EEEvPS1_PS2_i
		.amdhsa_group_segment_fixed_size 0
		.amdhsa_private_segment_fixed_size 0
		.amdhsa_kernarg_size 280
		.amdhsa_user_sgpr_count 2
		.amdhsa_user_sgpr_dispatch_ptr 0
		.amdhsa_user_sgpr_queue_ptr 0
		.amdhsa_user_sgpr_kernarg_segment_ptr 1
		.amdhsa_user_sgpr_dispatch_id 0
		.amdhsa_user_sgpr_private_segment_size 0
		.amdhsa_wavefront_size32 1
		.amdhsa_uses_dynamic_stack 0
		.amdhsa_enable_private_segment 0
		.amdhsa_system_sgpr_workgroup_id_x 1
		.amdhsa_system_sgpr_workgroup_id_y 0
		.amdhsa_system_sgpr_workgroup_id_z 0
		.amdhsa_system_sgpr_workgroup_info 0
		.amdhsa_system_vgpr_workitem_id 0
		.amdhsa_next_free_vgpr 12
		.amdhsa_next_free_sgpr 15
		.amdhsa_reserve_vcc 1
		.amdhsa_float_round_mode_32 0
		.amdhsa_float_round_mode_16_64 0
		.amdhsa_float_denorm_mode_32 3
		.amdhsa_float_denorm_mode_16_64 3
		.amdhsa_fp16_overflow 0
		.amdhsa_workgroup_processor_mode 1
		.amdhsa_memory_ordered 1
		.amdhsa_forward_progress 1
		.amdhsa_inst_pref_size 4
		.amdhsa_round_robin_scheduling 0
		.amdhsa_exception_fp_ieee_invalid_op 0
		.amdhsa_exception_fp_denorm_src 0
		.amdhsa_exception_fp_ieee_div_zero 0
		.amdhsa_exception_fp_ieee_overflow 0
		.amdhsa_exception_fp_ieee_underflow 0
		.amdhsa_exception_fp_ieee_inexact 0
		.amdhsa_exception_int_div_zero 0
	.end_amdhsa_kernel
	.section	.text._ZN4vllm18act_and_mul_kernelIfTnPFT_RKS1_EXadL_ZNS_11silu_kernelIfEES1_S3_EELb0EEEvPS1_PS2_i,"axG",@progbits,_ZN4vllm18act_and_mul_kernelIfTnPFT_RKS1_EXadL_ZNS_11silu_kernelIfEES1_S3_EELb0EEEvPS1_PS2_i,comdat
.Lfunc_end3:
	.size	_ZN4vllm18act_and_mul_kernelIfTnPFT_RKS1_EXadL_ZNS_11silu_kernelIfEES1_S3_EELb0EEEvPS1_PS2_i, .Lfunc_end3-_ZN4vllm18act_and_mul_kernelIfTnPFT_RKS1_EXadL_ZNS_11silu_kernelIfEES1_S3_EELb0EEEvPS1_PS2_i
                                        ; -- End function
	.set _ZN4vllm18act_and_mul_kernelIfTnPFT_RKS1_EXadL_ZNS_11silu_kernelIfEES1_S3_EELb0EEEvPS1_PS2_i.num_vgpr, 12
	.set _ZN4vllm18act_and_mul_kernelIfTnPFT_RKS1_EXadL_ZNS_11silu_kernelIfEES1_S3_EELb0EEEvPS1_PS2_i.num_agpr, 0
	.set _ZN4vllm18act_and_mul_kernelIfTnPFT_RKS1_EXadL_ZNS_11silu_kernelIfEES1_S3_EELb0EEEvPS1_PS2_i.numbered_sgpr, 15
	.set _ZN4vllm18act_and_mul_kernelIfTnPFT_RKS1_EXadL_ZNS_11silu_kernelIfEES1_S3_EELb0EEEvPS1_PS2_i.num_named_barrier, 0
	.set _ZN4vllm18act_and_mul_kernelIfTnPFT_RKS1_EXadL_ZNS_11silu_kernelIfEES1_S3_EELb0EEEvPS1_PS2_i.private_seg_size, 0
	.set _ZN4vllm18act_and_mul_kernelIfTnPFT_RKS1_EXadL_ZNS_11silu_kernelIfEES1_S3_EELb0EEEvPS1_PS2_i.uses_vcc, 1
	.set _ZN4vllm18act_and_mul_kernelIfTnPFT_RKS1_EXadL_ZNS_11silu_kernelIfEES1_S3_EELb0EEEvPS1_PS2_i.uses_flat_scratch, 0
	.set _ZN4vllm18act_and_mul_kernelIfTnPFT_RKS1_EXadL_ZNS_11silu_kernelIfEES1_S3_EELb0EEEvPS1_PS2_i.has_dyn_sized_stack, 0
	.set _ZN4vllm18act_and_mul_kernelIfTnPFT_RKS1_EXadL_ZNS_11silu_kernelIfEES1_S3_EELb0EEEvPS1_PS2_i.has_recursion, 0
	.set _ZN4vllm18act_and_mul_kernelIfTnPFT_RKS1_EXadL_ZNS_11silu_kernelIfEES1_S3_EELb0EEEvPS1_PS2_i.has_indirect_call, 0
	.section	.AMDGPU.csdata,"",@progbits
; Kernel info:
; codeLenInByte = 504
; TotalNumSgprs: 17
; NumVgprs: 12
; ScratchSize: 0
; MemoryBound: 0
; FloatMode: 240
; IeeeMode: 1
; LDSByteSize: 0 bytes/workgroup (compile time only)
; SGPRBlocks: 0
; VGPRBlocks: 1
; NumSGPRsForWavesPerEU: 17
; NumVGPRsForWavesPerEU: 12
; Occupancy: 16
; WaveLimiterHint : 0
; COMPUTE_PGM_RSRC2:SCRATCH_EN: 0
; COMPUTE_PGM_RSRC2:USER_SGPR: 2
; COMPUTE_PGM_RSRC2:TRAP_HANDLER: 0
; COMPUTE_PGM_RSRC2:TGID_X_EN: 1
; COMPUTE_PGM_RSRC2:TGID_Y_EN: 0
; COMPUTE_PGM_RSRC2:TGID_Z_EN: 0
; COMPUTE_PGM_RSRC2:TIDIG_COMP_CNT: 0
	.section	.text._ZN4vllm18act_and_mul_kernelIN3c104HalfETnPFT_RKS3_EXadL_ZNS_11silu_kernelIS2_EES3_S5_EELb0EEEvPS3_PS4_i,"axG",@progbits,_ZN4vllm18act_and_mul_kernelIN3c104HalfETnPFT_RKS3_EXadL_ZNS_11silu_kernelIS2_EES3_S5_EELb0EEEvPS3_PS4_i,comdat
	.protected	_ZN4vllm18act_and_mul_kernelIN3c104HalfETnPFT_RKS3_EXadL_ZNS_11silu_kernelIS2_EES3_S5_EELb0EEEvPS3_PS4_i ; -- Begin function _ZN4vllm18act_and_mul_kernelIN3c104HalfETnPFT_RKS3_EXadL_ZNS_11silu_kernelIS2_EES3_S5_EELb0EEEvPS3_PS4_i
	.globl	_ZN4vllm18act_and_mul_kernelIN3c104HalfETnPFT_RKS3_EXadL_ZNS_11silu_kernelIS2_EES3_S5_EELb0EEEvPS3_PS4_i
	.p2align	8
	.type	_ZN4vllm18act_and_mul_kernelIN3c104HalfETnPFT_RKS3_EXadL_ZNS_11silu_kernelIS2_EES3_S5_EELb0EEEvPS3_PS4_i,@function
_ZN4vllm18act_and_mul_kernelIN3c104HalfETnPFT_RKS3_EXadL_ZNS_11silu_kernelIS2_EES3_S5_EELb0EEEvPS3_PS4_i: ; @_ZN4vllm18act_and_mul_kernelIN3c104HalfETnPFT_RKS3_EXadL_ZNS_11silu_kernelIS2_EES3_S5_EELb0EEEvPS3_PS4_i
; %bb.0:
	s_load_b32 s2, s[0:1], 0x10
	s_mov_b32 s3, exec_lo
	s_wait_kmcnt 0x0
	v_cmpx_gt_i32_e64 s2, v0
	s_cbranch_execz .LBB4_8
; %bb.1:
	v_dual_mov_b32 v1, 0 :: v_dual_add_nc_u32 v2, 1, v0
	s_clause 0x1
	s_load_b32 s8, s[0:1], 0x24
	s_load_b128 s[4:7], s[0:1], 0x0
	s_ashr_i32 s3, s2, 31
	v_mov_b32_e32 v3, v1
	s_mov_b32 s10, ttmp9
	s_mov_b32 s11, 0
	s_mov_b32 s0, -1
	s_wait_alu 0xfffe
	s_mul_u64 s[12:13], s[10:11], s[2:3]
	v_cmp_lt_i64_e32 vcc_lo, s[2:3], v[2:3]
	v_cndmask_b32_e32 v2, s2, v2, vcc_lo
	v_cndmask_b32_e64 v3, s3, 0, vcc_lo
	s_delay_alu instid0(VALU_DEP_2) | instskip(SKIP_1) | instid1(VALU_DEP_2)
	v_sub_co_u32 v2, vcc_lo, v2, v0
	s_wait_alu 0xfffd
	v_subrev_co_ci_u32_e64 v3, null, 0, v3, vcc_lo
	s_wait_kmcnt 0x0
	s_and_b32 s14, s8, 0xffff
	s_lshl_b64 s[8:9], s[12:13], 2
	s_cmp_eq_u32 s14, 1
	v_cmp_lt_u64_e32 vcc_lo, 1, v[2:3]
	s_cselect_b32 s1, -1, 0
	s_add_nc_u64 s[8:9], s[6:7], s[8:9]
	s_and_b32 s1, vcc_lo, s1
	s_delay_alu instid0(SALU_CYCLE_1)
	s_and_saveexec_b32 s15, s1
	s_cbranch_execz .LBB4_5
; %bb.2:
	v_lshlrev_b64_e32 v[10:11], 1, v[0:1]
	s_lshl_b64 s[0:1], s[10:11], 2
	s_lshl_b64 s[16:17], s[12:13], 1
	s_or_b32 s0, s0, 2
	s_add_nc_u64 s[16:17], s[4:5], s[16:17]
	s_mul_u64 s[0:1], s[0:1], s[2:3]
	v_add_co_u32 v6, vcc_lo, s16, v10
	s_add_nc_u64 s[0:1], s[6:7], s[0:1]
	v_dual_mov_b32 v5, v3 :: v_dual_and_b32 v4, -2, v2
	s_wait_alu 0xfffd
	v_add_co_ci_u32_e64 v7, null, s17, v11, vcc_lo
	v_add_co_u32 v8, vcc_lo, s0, v10
	s_wait_alu 0xfffd
	v_add_co_ci_u32_e64 v9, null, s1, v11, vcc_lo
	v_add_co_u32 v10, vcc_lo, s8, v10
	s_wait_alu 0xfffd
	v_add_co_ci_u32_e64 v11, null, s9, v11, vcc_lo
	v_dual_mov_b32 v13, v5 :: v_dual_mov_b32 v12, v4
	s_mov_b32 s6, 0x3fb8aa3b
	s_mov_b32 s7, 0x32a5705f
.LBB4_3:                                ; =>This Inner Loop Header: Depth=1
	global_load_b32 v1, v[8:9], off
	global_load_b32 v14, v[10:11], off
	v_add_co_u32 v12, vcc_lo, v12, -2
	s_wait_alu 0xfffd
	v_add_co_ci_u32_e64 v13, null, -1, v13, vcc_lo
	v_add_co_u32 v8, vcc_lo, v8, 4
	s_wait_alu 0xfffd
	v_add_co_ci_u32_e64 v9, null, 0, v9, vcc_lo
	v_add_co_u32 v10, vcc_lo, v10, 4
	s_wait_alu 0xfffd
	v_add_co_ci_u32_e64 v11, null, 0, v11, vcc_lo
	v_cmp_eq_u64_e64 s0, 0, v[12:13]
	s_or_b32 s11, s0, s11
	s_wait_loadcnt 0x1
	v_lshrrev_b32_e32 v15, 16, v1
	v_cvt_f32_f16_e64 v16, -v1
	v_cvt_f32_f16_e32 v17, v1
	s_delay_alu instid0(VALU_DEP_3) | instskip(NEXT) | instid1(VALU_DEP_3)
	v_cvt_f32_f16_e64 v18, -v15
	v_mul_f32_e32 v19, 0x3fb8aa3b, v16
	v_cmp_ngt_f32_e32 vcc_lo, 0xc2ce8ed0, v16
	v_cvt_f32_f16_e32 v15, v15
	s_delay_alu instid0(VALU_DEP_4) | instskip(NEXT) | instid1(VALU_DEP_4)
	v_mul_f32_e32 v20, 0x3fb8aa3b, v18
	v_rndne_f32_e32 v21, v19
	v_fma_mix_f32 v22, -v1, s6, -v19 op_sel_hi:[1,0,0]
	v_cmp_ngt_f32_e64 s1, 0xc2ce8ed0, v18
	s_delay_alu instid0(VALU_DEP_4) | instskip(NEXT) | instid1(VALU_DEP_4)
	v_rndne_f32_e32 v23, v20
	v_sub_f32_e32 v19, v19, v21
	s_delay_alu instid0(VALU_DEP_4) | instskip(SKIP_2) | instid1(VALU_DEP_3)
	v_fma_mix_f32 v22, -v1, s7, v22 op_sel_hi:[1,0,0]
	v_fma_mix_f32 v24, -v1, s6, -v20 op_sel:[1,0,0] op_sel_hi:[1,0,0]
	v_cvt_i32_f32_e32 v21, v21
	v_dual_sub_f32 v20, v20, v23 :: v_dual_add_f32 v19, v19, v22
	s_delay_alu instid0(VALU_DEP_3) | instskip(SKIP_1) | instid1(VALU_DEP_3)
	v_fma_mix_f32 v1, -v1, s7, v24 op_sel:[1,0,0] op_sel_hi:[1,0,0]
	v_cvt_i32_f32_e32 v22, v23
	v_exp_f32_e32 v19, v19
	s_delay_alu instid0(TRANS32_DEP_1) | instskip(SKIP_1) | instid1(VALU_DEP_1)
	v_ldexp_f32 v19, v19, v21
	s_wait_alu 0xfffd
	v_cndmask_b32_e32 v19, 0, v19, vcc_lo
	v_cmp_nlt_f32_e32 vcc_lo, 0x42b17218, v16
	s_wait_alu 0xfffd
	s_delay_alu instid0(VALU_DEP_2) | instskip(NEXT) | instid1(VALU_DEP_1)
	v_dual_add_f32 v1, v20, v1 :: v_dual_cndmask_b32 v16, 0x7f800000, v19
	v_exp_f32_e32 v1, v1
	v_cmp_nlt_f32_e32 vcc_lo, 0x42b17218, v18
	s_delay_alu instid0(VALU_DEP_2) | instskip(NEXT) | instid1(VALU_DEP_1)
	v_add_f32_e32 v16, 1.0, v16
	v_div_scale_f32 v18, null, v16, v16, v17
	s_delay_alu instid0(TRANS32_DEP_1) | instskip(NEXT) | instid1(VALU_DEP_2)
	v_ldexp_f32 v1, v1, v22
	v_rcp_f32_e32 v22, v18
	s_wait_alu 0xf1ff
	s_delay_alu instid0(VALU_DEP_1) | instskip(SKIP_1) | instid1(TRANS32_DEP_1)
	v_cndmask_b32_e64 v1, 0, v1, s1
	v_div_scale_f32 v19, s1, v17, v16, v17
	v_fma_f32 v24, -v18, v22, 1.0
	s_wait_alu 0xfffd
	s_delay_alu instid0(VALU_DEP_1) | instskip(NEXT) | instid1(VALU_DEP_1)
	v_dual_fmac_f32 v22, v24, v22 :: v_dual_cndmask_b32 v1, 0x7f800000, v1
	v_mul_f32_e32 v24, v19, v22
	s_delay_alu instid0(VALU_DEP_1) | instskip(NEXT) | instid1(VALU_DEP_1)
	v_fma_f32 v26, -v18, v24, v19
	v_dual_add_f32 v1, 1.0, v1 :: v_dual_fmac_f32 v24, v26, v22
	s_delay_alu instid0(VALU_DEP_1) | instskip(SKIP_1) | instid1(VALU_DEP_3)
	v_div_scale_f32 v20, null, v1, v1, v15
	v_div_scale_f32 v23, vcc_lo, v15, v1, v15
	v_fma_f32 v18, -v18, v24, v19
	s_delay_alu instid0(VALU_DEP_3) | instskip(NEXT) | instid1(TRANS32_DEP_1)
	v_rcp_f32_e32 v21, v20
	v_fma_f32 v25, -v20, v21, 1.0
	s_delay_alu instid0(VALU_DEP_1) | instskip(NEXT) | instid1(VALU_DEP_1)
	v_fmac_f32_e32 v21, v25, v21
	v_mul_f32_e32 v25, v23, v21
	s_delay_alu instid0(VALU_DEP_1) | instskip(NEXT) | instid1(VALU_DEP_1)
	v_fma_f32 v27, -v20, v25, v23
	v_fmac_f32_e32 v25, v27, v21
	s_delay_alu instid0(VALU_DEP_1) | instskip(SKIP_1) | instid1(VALU_DEP_1)
	v_fma_f32 v19, -v20, v25, v23
	s_wait_alu 0xfffd
	v_div_fmas_f32 v19, v19, v21, v25
	s_mov_b32 vcc_lo, s1
	s_wait_alu 0xfffe
	v_div_fmas_f32 v18, v18, v22, v24
	s_delay_alu instid0(VALU_DEP_2) | instskip(NEXT) | instid1(VALU_DEP_2)
	v_div_fixup_f32 v1, v19, v1, v15
	v_div_fixup_f32 v15, v18, v16, v17
	s_delay_alu instid0(VALU_DEP_2) | instskip(NEXT) | instid1(VALU_DEP_2)
	v_cvt_f16_f32_e32 v1, v1
	v_cvt_f16_f32_e32 v15, v15
	s_delay_alu instid0(VALU_DEP_1) | instskip(SKIP_1) | instid1(VALU_DEP_1)
	v_pack_b32_f16 v1, v15, v1
	s_wait_loadcnt 0x0
	v_pk_mul_f16 v1, v14, v1
	global_store_b32 v[6:7], v1, off
	v_add_co_u32 v6, vcc_lo, v6, 4
	s_wait_alu 0xfffd
	v_add_co_ci_u32_e64 v7, null, 0, v7, vcc_lo
	s_and_not1_b32 exec_lo, exec_lo, s11
	s_cbranch_execnz .LBB4_3
; %bb.4:
	s_or_b32 exec_lo, exec_lo, s11
	v_cmp_ne_u64_e32 vcc_lo, v[2:3], v[4:5]
	v_add_co_u32 v0, s0, v4, v0
	s_wait_alu 0xf1ff
	v_add_co_ci_u32_e64 v1, null, 0, v5, s0
	s_or_not1_b32 s0, vcc_lo, exec_lo
.LBB4_5:
	s_or_b32 exec_lo, exec_lo, s15
	s_wait_alu 0xfffe
	s_and_b32 exec_lo, exec_lo, s0
	s_cbranch_execz .LBB4_8
; %bb.6:
	v_lshlrev_b64_e32 v[2:3], 1, v[0:1]
	s_lshl_b64 s[0:1], s[2:3], 1
	s_lshl_b64 s[10:11], s[12:13], 1
	s_wait_alu 0xfffe
	s_add_nc_u64 s[6:7], s[8:9], s[0:1]
	s_add_nc_u64 s[4:5], s[4:5], s[10:11]
	s_mov_b32 s1, 0
	s_lshl_b32 s10, s14, 1
	s_mov_b32 s11, 0x3fb8aa3b
	s_mov_b32 s12, 0x32a5705f
.LBB4_7:                                ; =>This Inner Loop Header: Depth=1
	s_wait_alu 0xfffe
	v_add_co_u32 v4, vcc_lo, s6, v2
	s_wait_alu 0xfffd
	v_add_co_ci_u32_e64 v5, null, s7, v3, vcc_lo
	v_add_co_u32 v6, vcc_lo, s8, v2
	s_wait_alu 0xfffd
	v_add_co_ci_u32_e64 v7, null, s9, v3, vcc_lo
	s_clause 0x1
	global_load_u16 v4, v[4:5], off
	global_load_u16 v6, v[6:7], off
	s_wait_loadcnt 0x1
	v_cvt_f32_f16_e64 v5, -v4
	s_delay_alu instid0(VALU_DEP_1) | instskip(SKIP_1) | instid1(VALU_DEP_2)
	v_mul_f32_e32 v7, 0x3fb8aa3b, v5
	v_cmp_ngt_f32_e32 vcc_lo, 0xc2ce8ed0, v5
	v_fma_mix_f32 v8, -v4, s11, -v7 op_sel_hi:[1,0,0]
	v_rndne_f32_e32 v9, v7
	s_delay_alu instid0(VALU_DEP_2) | instskip(NEXT) | instid1(VALU_DEP_2)
	v_fma_mix_f32 v8, -v4, s12, v8 op_sel_hi:[1,0,0]
	v_sub_f32_e32 v7, v7, v9
	v_cvt_f32_f16_e32 v4, v4
	s_delay_alu instid0(VALU_DEP_2) | instskip(SKIP_1) | instid1(VALU_DEP_2)
	v_add_f32_e32 v7, v7, v8
	v_cvt_i32_f32_e32 v8, v9
	v_exp_f32_e32 v7, v7
	s_delay_alu instid0(TRANS32_DEP_1) | instskip(SKIP_1) | instid1(VALU_DEP_1)
	v_ldexp_f32 v7, v7, v8
	s_wait_alu 0xfffd
	v_cndmask_b32_e32 v7, 0, v7, vcc_lo
	v_cmp_nlt_f32_e32 vcc_lo, 0x42b17218, v5
	s_wait_alu 0xfffd
	s_delay_alu instid0(VALU_DEP_2) | instskip(NEXT) | instid1(VALU_DEP_1)
	v_cndmask_b32_e32 v5, 0x7f800000, v7, vcc_lo
	v_add_f32_e32 v5, 1.0, v5
	s_delay_alu instid0(VALU_DEP_1) | instskip(SKIP_1) | instid1(VALU_DEP_2)
	v_div_scale_f32 v7, null, v5, v5, v4
	v_div_scale_f32 v10, vcc_lo, v4, v5, v4
	v_rcp_f32_e32 v8, v7
	s_delay_alu instid0(TRANS32_DEP_1) | instskip(NEXT) | instid1(VALU_DEP_1)
	v_fma_f32 v9, -v7, v8, 1.0
	v_fmac_f32_e32 v8, v9, v8
	s_delay_alu instid0(VALU_DEP_1) | instskip(NEXT) | instid1(VALU_DEP_1)
	v_mul_f32_e32 v9, v10, v8
	v_fma_f32 v11, -v7, v9, v10
	s_delay_alu instid0(VALU_DEP_1) | instskip(NEXT) | instid1(VALU_DEP_1)
	v_fmac_f32_e32 v9, v11, v8
	v_fma_f32 v7, -v7, v9, v10
	s_wait_alu 0xfffd
	s_delay_alu instid0(VALU_DEP_1) | instskip(SKIP_3) | instid1(VALU_DEP_3)
	v_div_fmas_f32 v7, v7, v8, v9
	v_add_co_u32 v0, vcc_lo, v0, s14
	s_wait_alu 0xfffd
	v_add_co_ci_u32_e64 v1, null, 0, v1, vcc_lo
	v_div_fixup_f32 v7, v7, v5, v4
	v_add_co_u32 v4, vcc_lo, s4, v2
	s_wait_alu 0xfffd
	v_add_co_ci_u32_e64 v5, null, s5, v3, vcc_lo
	s_delay_alu instid0(VALU_DEP_3)
	v_cvt_f16_f32_e32 v7, v7
	v_cmp_le_i64_e32 vcc_lo, s[2:3], v[0:1]
	v_add_co_u32 v2, s0, v2, s10
	s_wait_alu 0xf1ff
	v_add_co_ci_u32_e64 v3, null, 0, v3, s0
	s_wait_loadcnt 0x0
	v_mul_f16_e32 v6, v6, v7
	s_or_b32 s1, vcc_lo, s1
	global_store_b16 v[4:5], v6, off
	s_wait_alu 0xfffe
	s_and_not1_b32 exec_lo, exec_lo, s1
	s_cbranch_execnz .LBB4_7
.LBB4_8:
	s_endpgm
	.section	.rodata,"a",@progbits
	.p2align	6, 0x0
	.amdhsa_kernel _ZN4vllm18act_and_mul_kernelIN3c104HalfETnPFT_RKS3_EXadL_ZNS_11silu_kernelIS2_EES3_S5_EELb0EEEvPS3_PS4_i
		.amdhsa_group_segment_fixed_size 0
		.amdhsa_private_segment_fixed_size 0
		.amdhsa_kernarg_size 280
		.amdhsa_user_sgpr_count 2
		.amdhsa_user_sgpr_dispatch_ptr 0
		.amdhsa_user_sgpr_queue_ptr 0
		.amdhsa_user_sgpr_kernarg_segment_ptr 1
		.amdhsa_user_sgpr_dispatch_id 0
		.amdhsa_user_sgpr_private_segment_size 0
		.amdhsa_wavefront_size32 1
		.amdhsa_uses_dynamic_stack 0
		.amdhsa_enable_private_segment 0
		.amdhsa_system_sgpr_workgroup_id_x 1
		.amdhsa_system_sgpr_workgroup_id_y 0
		.amdhsa_system_sgpr_workgroup_id_z 0
		.amdhsa_system_sgpr_workgroup_info 0
		.amdhsa_system_vgpr_workitem_id 0
		.amdhsa_next_free_vgpr 28
		.amdhsa_next_free_sgpr 18
		.amdhsa_reserve_vcc 1
		.amdhsa_float_round_mode_32 0
		.amdhsa_float_round_mode_16_64 0
		.amdhsa_float_denorm_mode_32 3
		.amdhsa_float_denorm_mode_16_64 3
		.amdhsa_fp16_overflow 0
		.amdhsa_workgroup_processor_mode 1
		.amdhsa_memory_ordered 1
		.amdhsa_forward_progress 1
		.amdhsa_inst_pref_size 12
		.amdhsa_round_robin_scheduling 0
		.amdhsa_exception_fp_ieee_invalid_op 0
		.amdhsa_exception_fp_denorm_src 0
		.amdhsa_exception_fp_ieee_div_zero 0
		.amdhsa_exception_fp_ieee_overflow 0
		.amdhsa_exception_fp_ieee_underflow 0
		.amdhsa_exception_fp_ieee_inexact 0
		.amdhsa_exception_int_div_zero 0
	.end_amdhsa_kernel
	.section	.text._ZN4vllm18act_and_mul_kernelIN3c104HalfETnPFT_RKS3_EXadL_ZNS_11silu_kernelIS2_EES3_S5_EELb0EEEvPS3_PS4_i,"axG",@progbits,_ZN4vllm18act_and_mul_kernelIN3c104HalfETnPFT_RKS3_EXadL_ZNS_11silu_kernelIS2_EES3_S5_EELb0EEEvPS3_PS4_i,comdat
.Lfunc_end4:
	.size	_ZN4vllm18act_and_mul_kernelIN3c104HalfETnPFT_RKS3_EXadL_ZNS_11silu_kernelIS2_EES3_S5_EELb0EEEvPS3_PS4_i, .Lfunc_end4-_ZN4vllm18act_and_mul_kernelIN3c104HalfETnPFT_RKS3_EXadL_ZNS_11silu_kernelIS2_EES3_S5_EELb0EEEvPS3_PS4_i
                                        ; -- End function
	.set _ZN4vllm18act_and_mul_kernelIN3c104HalfETnPFT_RKS3_EXadL_ZNS_11silu_kernelIS2_EES3_S5_EELb0EEEvPS3_PS4_i.num_vgpr, 28
	.set _ZN4vllm18act_and_mul_kernelIN3c104HalfETnPFT_RKS3_EXadL_ZNS_11silu_kernelIS2_EES3_S5_EELb0EEEvPS3_PS4_i.num_agpr, 0
	.set _ZN4vllm18act_and_mul_kernelIN3c104HalfETnPFT_RKS3_EXadL_ZNS_11silu_kernelIS2_EES3_S5_EELb0EEEvPS3_PS4_i.numbered_sgpr, 18
	.set _ZN4vllm18act_and_mul_kernelIN3c104HalfETnPFT_RKS3_EXadL_ZNS_11silu_kernelIS2_EES3_S5_EELb0EEEvPS3_PS4_i.num_named_barrier, 0
	.set _ZN4vllm18act_and_mul_kernelIN3c104HalfETnPFT_RKS3_EXadL_ZNS_11silu_kernelIS2_EES3_S5_EELb0EEEvPS3_PS4_i.private_seg_size, 0
	.set _ZN4vllm18act_and_mul_kernelIN3c104HalfETnPFT_RKS3_EXadL_ZNS_11silu_kernelIS2_EES3_S5_EELb0EEEvPS3_PS4_i.uses_vcc, 1
	.set _ZN4vllm18act_and_mul_kernelIN3c104HalfETnPFT_RKS3_EXadL_ZNS_11silu_kernelIS2_EES3_S5_EELb0EEEvPS3_PS4_i.uses_flat_scratch, 0
	.set _ZN4vllm18act_and_mul_kernelIN3c104HalfETnPFT_RKS3_EXadL_ZNS_11silu_kernelIS2_EES3_S5_EELb0EEEvPS3_PS4_i.has_dyn_sized_stack, 0
	.set _ZN4vllm18act_and_mul_kernelIN3c104HalfETnPFT_RKS3_EXadL_ZNS_11silu_kernelIS2_EES3_S5_EELb0EEEvPS3_PS4_i.has_recursion, 0
	.set _ZN4vllm18act_and_mul_kernelIN3c104HalfETnPFT_RKS3_EXadL_ZNS_11silu_kernelIS2_EES3_S5_EELb0EEEvPS3_PS4_i.has_indirect_call, 0
	.section	.AMDGPU.csdata,"",@progbits
; Kernel info:
; codeLenInByte = 1420
; TotalNumSgprs: 20
; NumVgprs: 28
; ScratchSize: 0
; MemoryBound: 0
; FloatMode: 240
; IeeeMode: 1
; LDSByteSize: 0 bytes/workgroup (compile time only)
; SGPRBlocks: 0
; VGPRBlocks: 3
; NumSGPRsForWavesPerEU: 20
; NumVGPRsForWavesPerEU: 28
; Occupancy: 16
; WaveLimiterHint : 0
; COMPUTE_PGM_RSRC2:SCRATCH_EN: 0
; COMPUTE_PGM_RSRC2:USER_SGPR: 2
; COMPUTE_PGM_RSRC2:TRAP_HANDLER: 0
; COMPUTE_PGM_RSRC2:TGID_X_EN: 1
; COMPUTE_PGM_RSRC2:TGID_Y_EN: 0
; COMPUTE_PGM_RSRC2:TGID_Z_EN: 0
; COMPUTE_PGM_RSRC2:TIDIG_COMP_CNT: 0
	.section	.text._ZN4vllm18act_and_mul_kernelIN3c108BFloat16ETnPFT_RKS3_EXadL_ZNS_11silu_kernelIS2_EES3_S5_EELb0EEEvPS3_PS4_i,"axG",@progbits,_ZN4vllm18act_and_mul_kernelIN3c108BFloat16ETnPFT_RKS3_EXadL_ZNS_11silu_kernelIS2_EES3_S5_EELb0EEEvPS3_PS4_i,comdat
	.protected	_ZN4vllm18act_and_mul_kernelIN3c108BFloat16ETnPFT_RKS3_EXadL_ZNS_11silu_kernelIS2_EES3_S5_EELb0EEEvPS3_PS4_i ; -- Begin function _ZN4vllm18act_and_mul_kernelIN3c108BFloat16ETnPFT_RKS3_EXadL_ZNS_11silu_kernelIS2_EES3_S5_EELb0EEEvPS3_PS4_i
	.globl	_ZN4vllm18act_and_mul_kernelIN3c108BFloat16ETnPFT_RKS3_EXadL_ZNS_11silu_kernelIS2_EES3_S5_EELb0EEEvPS3_PS4_i
	.p2align	8
	.type	_ZN4vllm18act_and_mul_kernelIN3c108BFloat16ETnPFT_RKS3_EXadL_ZNS_11silu_kernelIS2_EES3_S5_EELb0EEEvPS3_PS4_i,@function
_ZN4vllm18act_and_mul_kernelIN3c108BFloat16ETnPFT_RKS3_EXadL_ZNS_11silu_kernelIS2_EES3_S5_EELb0EEEvPS3_PS4_i: ; @_ZN4vllm18act_and_mul_kernelIN3c108BFloat16ETnPFT_RKS3_EXadL_ZNS_11silu_kernelIS2_EES3_S5_EELb0EEEvPS3_PS4_i
; %bb.0:
	s_load_b32 s2, s[0:1], 0x10
	s_mov_b32 s3, exec_lo
	s_wait_kmcnt 0x0
	v_cmpx_gt_i32_e64 s2, v0
	s_cbranch_execz .LBB5_8
; %bb.1:
	v_dual_mov_b32 v1, 0 :: v_dual_add_nc_u32 v2, 1, v0
	s_clause 0x1
	s_load_b32 s8, s[0:1], 0x24
	s_load_b128 s[4:7], s[0:1], 0x0
	s_ashr_i32 s3, s2, 31
	v_mov_b32_e32 v3, v1
	s_mov_b32 s10, ttmp9
	s_mov_b32 s11, 0
	s_mov_b32 s0, -1
	s_wait_alu 0xfffe
	s_mul_u64 s[12:13], s[10:11], s[2:3]
	v_cmp_lt_i64_e32 vcc_lo, s[2:3], v[2:3]
	v_cndmask_b32_e32 v2, s2, v2, vcc_lo
	v_cndmask_b32_e64 v3, s3, 0, vcc_lo
	s_delay_alu instid0(VALU_DEP_2) | instskip(SKIP_1) | instid1(VALU_DEP_2)
	v_sub_co_u32 v2, vcc_lo, v2, v0
	s_wait_alu 0xfffd
	v_subrev_co_ci_u32_e64 v3, null, 0, v3, vcc_lo
	s_wait_kmcnt 0x0
	s_and_b32 s14, s8, 0xffff
	s_lshl_b64 s[8:9], s[12:13], 2
	s_cmp_eq_u32 s14, 1
	v_cmp_lt_u64_e32 vcc_lo, 1, v[2:3]
	s_cselect_b32 s1, -1, 0
	s_add_nc_u64 s[8:9], s[6:7], s[8:9]
	s_and_b32 s1, vcc_lo, s1
	s_delay_alu instid0(SALU_CYCLE_1)
	s_and_saveexec_b32 s15, s1
	s_cbranch_execz .LBB5_5
; %bb.2:
	v_lshlrev_b64_e32 v[10:11], 1, v[0:1]
	s_lshl_b64 s[0:1], s[10:11], 2
	s_lshl_b64 s[16:17], s[12:13], 1
	s_or_b32 s0, s0, 2
	s_add_nc_u64 s[16:17], s[4:5], s[16:17]
	s_mul_u64 s[0:1], s[0:1], s[2:3]
	v_add_co_u32 v6, vcc_lo, s16, v10
	s_add_nc_u64 s[0:1], s[6:7], s[0:1]
	v_dual_mov_b32 v5, v3 :: v_dual_and_b32 v4, -2, v2
	s_wait_alu 0xfffd
	v_add_co_ci_u32_e64 v7, null, s17, v11, vcc_lo
	v_add_co_u32 v8, vcc_lo, s0, v10
	s_wait_alu 0xfffd
	v_add_co_ci_u32_e64 v9, null, s1, v11, vcc_lo
	v_add_co_u32 v10, vcc_lo, s8, v10
	s_wait_alu 0xfffd
	v_add_co_ci_u32_e64 v11, null, s9, v11, vcc_lo
	v_dual_mov_b32 v13, v5 :: v_dual_mov_b32 v12, v4
.LBB5_3:                                ; =>This Inner Loop Header: Depth=1
	global_load_b32 v1, v[8:9], off
	global_load_b32 v14, v[10:11], off
	v_add_co_u32 v12, vcc_lo, v12, -2
	s_wait_alu 0xfffd
	v_add_co_ci_u32_e64 v13, null, -1, v13, vcc_lo
	v_add_co_u32 v8, vcc_lo, v8, 4
	s_wait_alu 0xfffd
	v_add_co_ci_u32_e64 v9, null, 0, v9, vcc_lo
	v_add_co_u32 v10, vcc_lo, v10, 4
	s_wait_alu 0xfffd
	v_add_co_ci_u32_e64 v11, null, 0, v11, vcc_lo
	v_cmp_eq_u64_e64 s0, 0, v[12:13]
	s_or_b32 s11, s0, s11
	s_wait_loadcnt 0x1
	v_lshlrev_b32_e32 v15, 16, v1
	v_and_b32_e32 v1, 0xffff0000, v1
	s_delay_alu instid0(VALU_DEP_1) | instskip(SKIP_1) | instid1(VALU_DEP_2)
	v_xor_b32_e32 v18, 0x80000000, v1
	v_cmp_o_f32_e32 vcc_lo, v1, v1
	v_lshrrev_b32_e32 v20, 16, v18
	s_delay_alu instid0(VALU_DEP_1) | instskip(NEXT) | instid1(VALU_DEP_1)
	v_and_b32_e32 v20, 1, v20
	v_add3_u32 v18, v18, v20, 0x7fff
	s_delay_alu instid0(VALU_DEP_1) | instskip(SKIP_1) | instid1(VALU_DEP_1)
	v_and_b32_e32 v18, 0xffff0000, v18
	s_wait_alu 0xfffd
	v_cndmask_b32_e32 v18, 0x7fc00000, v18, vcc_lo
	v_xor_b32_e32 v17, 0x80000000, v15
	v_cmp_o_f32_e64 s1, v15, v15
	s_delay_alu instid0(VALU_DEP_3) | instskip(NEXT) | instid1(VALU_DEP_3)
	v_cmp_ngt_f32_e32 vcc_lo, 0xc2ce8ed0, v18
	v_lshrrev_b32_e32 v19, 16, v17
	s_delay_alu instid0(VALU_DEP_1) | instskip(NEXT) | instid1(VALU_DEP_1)
	v_dual_mul_f32 v20, 0x3fb8aa3b, v18 :: v_dual_and_b32 v19, 1, v19
	v_fma_f32 v23, 0x3fb8aa3b, v18, -v20
	v_rndne_f32_e32 v24, v20
	s_delay_alu instid0(VALU_DEP_3) | instskip(NEXT) | instid1(VALU_DEP_2)
	v_add3_u32 v17, v17, v19, 0x7fff
	v_dual_fmac_f32 v23, 0x32a5705f, v18 :: v_dual_sub_f32 v20, v20, v24
	s_delay_alu instid0(VALU_DEP_1) | instskip(SKIP_1) | instid1(VALU_DEP_1)
	v_dual_add_f32 v20, v20, v23 :: v_dual_and_b32 v17, 0xffff0000, v17
	s_wait_alu 0xf1ff
	v_cndmask_b32_e64 v17, 0x7fc00000, v17, s1
	s_delay_alu instid0(VALU_DEP_2) | instskip(NEXT) | instid1(VALU_DEP_1)
	v_exp_f32_e32 v20, v20
	v_mul_f32_e32 v19, 0x3fb8aa3b, v17
	v_cmp_ngt_f32_e64 s1, 0xc2ce8ed0, v17
	s_delay_alu instid0(VALU_DEP_2) | instskip(SKIP_1) | instid1(VALU_DEP_2)
	v_fma_f32 v21, 0x3fb8aa3b, v17, -v19
	v_rndne_f32_e32 v22, v19
	v_fmac_f32_e32 v21, 0x32a5705f, v17
	s_delay_alu instid0(VALU_DEP_2) | instskip(SKIP_3) | instid1(VALU_DEP_3)
	v_sub_f32_e32 v19, v19, v22
	s_wait_loadcnt 0x0
	v_and_b32_e32 v16, 0xffff0000, v14
	v_cvt_i32_f32_e32 v22, v22
	v_add_f32_e32 v19, v19, v21
	v_cvt_i32_f32_e32 v21, v24
	s_delay_alu instid0(VALU_DEP_2) | instskip(NEXT) | instid1(VALU_DEP_1)
	v_exp_f32_e32 v19, v19
	v_ldexp_f32 v20, v20, v21
	s_wait_alu 0xfffd
	s_delay_alu instid0(VALU_DEP_1) | instskip(SKIP_1) | instid1(TRANS32_DEP_1)
	v_cndmask_b32_e32 v20, 0, v20, vcc_lo
	v_cmp_nlt_f32_e32 vcc_lo, 0x42b17218, v18
	v_ldexp_f32 v19, v19, v22
	s_wait_alu 0xfffd
	s_delay_alu instid0(VALU_DEP_3) | instskip(SKIP_1) | instid1(VALU_DEP_2)
	v_cndmask_b32_e32 v18, 0x7f800000, v20, vcc_lo
	s_wait_alu 0xf1ff
	v_cndmask_b32_e64 v19, 0, v19, s1
	v_cmp_nlt_f32_e64 s1, 0x42b17218, v17
	s_wait_alu 0xf1ff
	s_delay_alu instid0(VALU_DEP_1) | instskip(NEXT) | instid1(VALU_DEP_1)
	v_cndmask_b32_e64 v17, 0x7f800000, v19, s1
	v_dual_add_f32 v17, 1.0, v17 :: v_dual_lshlrev_b32 v14, 16, v14
	s_delay_alu instid0(VALU_DEP_1) | instskip(SKIP_1) | instid1(VALU_DEP_2)
	v_div_scale_f32 v19, null, v17, v17, v15
	v_div_scale_f32 v21, vcc_lo, v15, v17, v15
	v_rcp_f32_e32 v22, v19
	s_delay_alu instid0(TRANS32_DEP_1) | instskip(NEXT) | instid1(VALU_DEP_1)
	v_fma_f32 v25, -v19, v22, 1.0
	v_fmac_f32_e32 v22, v25, v22
	s_delay_alu instid0(VALU_DEP_1) | instskip(NEXT) | instid1(VALU_DEP_1)
	v_mul_f32_e32 v25, v21, v22
	v_fma_f32 v27, -v19, v25, v21
	s_delay_alu instid0(VALU_DEP_1) | instskip(NEXT) | instid1(VALU_DEP_1)
	v_fmac_f32_e32 v25, v27, v22
	v_fma_f32 v19, -v19, v25, v21
	s_wait_alu 0xfffd
	s_delay_alu instid0(VALU_DEP_1) | instskip(NEXT) | instid1(VALU_DEP_1)
	v_div_fmas_f32 v19, v19, v22, v25
	v_div_fixup_f32 v15, v19, v17, v15
	s_delay_alu instid0(VALU_DEP_1) | instskip(NEXT) | instid1(VALU_DEP_1)
	v_lshrrev_b32_e32 v17, 16, v15
	v_dual_add_f32 v18, 1.0, v18 :: v_dual_and_b32 v17, 1, v17
	s_delay_alu instid0(VALU_DEP_1) | instskip(SKIP_4) | instid1(VALU_DEP_1)
	v_div_scale_f32 v20, null, v18, v18, v1
	v_div_scale_f32 v24, s1, v1, v18, v1
	s_mov_b32 vcc_lo, s1
	v_rcp_f32_e32 v23, v20
	v_add3_u32 v17, v15, v17, 0x7fff
	v_and_b32_e32 v17, 0xffff0000, v17
	s_delay_alu instid0(TRANS32_DEP_1) | instskip(NEXT) | instid1(VALU_DEP_1)
	v_fma_f32 v26, -v20, v23, 1.0
	v_fmac_f32_e32 v23, v26, v23
	s_delay_alu instid0(VALU_DEP_1) | instskip(NEXT) | instid1(VALU_DEP_1)
	v_mul_f32_e32 v26, v24, v23
	v_fma_f32 v28, -v20, v26, v24
	s_delay_alu instid0(VALU_DEP_1) | instskip(NEXT) | instid1(VALU_DEP_1)
	v_fmac_f32_e32 v26, v28, v23
	v_fma_f32 v20, -v20, v26, v24
	s_wait_alu 0xfffe
	s_delay_alu instid0(VALU_DEP_1) | instskip(SKIP_1) | instid1(VALU_DEP_2)
	v_div_fmas_f32 v20, v20, v23, v26
	v_cmp_o_f32_e32 vcc_lo, v15, v15
	v_div_fixup_f32 v1, v20, v18, v1
	s_delay_alu instid0(VALU_DEP_1) | instskip(SKIP_1) | instid1(VALU_DEP_2)
	v_lshrrev_b32_e32 v18, 16, v1
	v_cmp_o_f32_e64 s1, v1, v1
	v_and_b32_e32 v18, 1, v18
	s_delay_alu instid0(VALU_DEP_1) | instskip(SKIP_2) | instid1(VALU_DEP_2)
	v_add3_u32 v18, v1, v18, 0x7fff
	s_wait_alu 0xfffd
	v_cndmask_b32_e32 v1, 0x7fc00000, v17, vcc_lo
	v_and_b32_e32 v15, 0xffff0000, v18
	s_delay_alu instid0(VALU_DEP_2) | instskip(SKIP_1) | instid1(VALU_DEP_2)
	v_mul_f32_e32 v1, v1, v14
	s_wait_alu 0xf1ff
	v_cndmask_b32_e64 v15, 0x7fc00000, v15, s1
	s_delay_alu instid0(VALU_DEP_1) | instskip(NEXT) | instid1(VALU_DEP_1)
	v_mul_f32_e32 v14, v15, v16
	v_lshrrev_b32_e32 v16, 16, v14
	v_cmp_o_f32_e64 s1, v14, v14
	s_delay_alu instid0(VALU_DEP_2) | instskip(SKIP_2) | instid1(VALU_DEP_3)
	v_and_b32_e32 v16, 1, v16
	v_lshrrev_b32_e32 v15, 16, v1
	v_cmp_o_f32_e32 vcc_lo, v1, v1
	v_add3_u32 v16, v14, v16, 0x7fff
	s_delay_alu instid0(VALU_DEP_3) | instskip(NEXT) | instid1(VALU_DEP_1)
	v_and_b32_e32 v15, 1, v15
	v_add3_u32 v15, v1, v15, 0x7fff
	s_delay_alu instid0(VALU_DEP_3) | instskip(NEXT) | instid1(VALU_DEP_2)
	v_lshrrev_b32_e32 v1, 16, v16
	v_lshrrev_b32_e32 v15, 16, v15
	s_wait_alu 0xf1ff
	s_delay_alu instid0(VALU_DEP_2) | instskip(SKIP_1) | instid1(VALU_DEP_2)
	v_cndmask_b32_e64 v1, 0x7fc0, v1, s1
	s_wait_alu 0xfffd
	v_cndmask_b32_e32 v14, 0x7fc0, v15, vcc_lo
	s_delay_alu instid0(VALU_DEP_1)
	v_perm_b32 v1, v1, v14, 0x5040100
	global_store_b32 v[6:7], v1, off
	v_add_co_u32 v6, vcc_lo, v6, 4
	s_wait_alu 0xfffd
	v_add_co_ci_u32_e64 v7, null, 0, v7, vcc_lo
	s_and_not1_b32 exec_lo, exec_lo, s11
	s_cbranch_execnz .LBB5_3
; %bb.4:
	s_or_b32 exec_lo, exec_lo, s11
	v_cmp_ne_u64_e32 vcc_lo, v[2:3], v[4:5]
	v_add_co_u32 v0, s0, v4, v0
	s_wait_alu 0xf1ff
	v_add_co_ci_u32_e64 v1, null, 0, v5, s0
	s_or_not1_b32 s0, vcc_lo, exec_lo
.LBB5_5:
	s_or_b32 exec_lo, exec_lo, s15
	s_wait_alu 0xfffe
	s_and_b32 exec_lo, exec_lo, s0
	s_cbranch_execz .LBB5_8
; %bb.6:
	v_lshlrev_b64_e32 v[2:3], 1, v[0:1]
	s_lshl_b64 s[0:1], s[2:3], 1
	s_lshl_b64 s[10:11], s[12:13], 1
	s_wait_alu 0xfffe
	s_add_nc_u64 s[6:7], s[8:9], s[0:1]
	s_add_nc_u64 s[4:5], s[4:5], s[10:11]
	s_mov_b32 s10, 0
	s_lshl_b32 s11, s14, 1
.LBB5_7:                                ; =>This Inner Loop Header: Depth=1
	v_add_co_u32 v4, vcc_lo, s6, v2
	s_wait_alu 0xfffd
	v_add_co_ci_u32_e64 v5, null, s7, v3, vcc_lo
	global_load_u16 v6, v[4:5], off
	v_add_co_u32 v4, vcc_lo, s8, v2
	s_wait_alu 0xfffd
	v_add_co_ci_u32_e64 v5, null, s9, v3, vcc_lo
	global_load_u16 v4, v[4:5], off
	s_wait_loadcnt 0x1
	v_lshlrev_b32_e32 v5, 16, v6
	s_delay_alu instid0(VALU_DEP_1) | instskip(SKIP_1) | instid1(VALU_DEP_2)
	v_xor_b32_e32 v6, 0x80000000, v5
	v_cmp_o_f32_e32 vcc_lo, v5, v5
	v_bfe_u32 v7, v6, 16, 1
	s_delay_alu instid0(VALU_DEP_1) | instskip(NEXT) | instid1(VALU_DEP_1)
	v_add3_u32 v6, v6, v7, 0x7fff
	v_and_b32_e32 v6, 0xffff0000, v6
	s_wait_alu 0xfffd
	s_delay_alu instid0(VALU_DEP_1) | instskip(NEXT) | instid1(VALU_DEP_1)
	v_cndmask_b32_e32 v6, 0x7fc00000, v6, vcc_lo
	v_mul_f32_e32 v7, 0x3fb8aa3b, v6
	s_delay_alu instid0(VALU_DEP_1) | instskip(SKIP_1) | instid1(VALU_DEP_1)
	v_fma_f32 v8, 0x3fb8aa3b, v6, -v7
	v_rndne_f32_e32 v9, v7
	v_dual_fmac_f32 v8, 0x32a5705f, v6 :: v_dual_sub_f32 v7, v7, v9
	s_delay_alu instid0(VALU_DEP_1) | instskip(SKIP_2) | instid1(VALU_DEP_3)
	v_add_f32_e32 v7, v7, v8
	v_cvt_i32_f32_e32 v8, v9
	v_cmp_ngt_f32_e32 vcc_lo, 0xc2ce8ed0, v6
	v_exp_f32_e32 v7, v7
	s_delay_alu instid0(TRANS32_DEP_1) | instskip(SKIP_1) | instid1(VALU_DEP_1)
	v_ldexp_f32 v7, v7, v8
	s_wait_alu 0xfffd
	v_cndmask_b32_e32 v7, 0, v7, vcc_lo
	v_cmp_nlt_f32_e32 vcc_lo, 0x42b17218, v6
	s_wait_alu 0xfffd
	s_delay_alu instid0(VALU_DEP_2) | instskip(NEXT) | instid1(VALU_DEP_1)
	v_cndmask_b32_e32 v6, 0x7f800000, v7, vcc_lo
	v_add_f32_e32 v6, 1.0, v6
	s_delay_alu instid0(VALU_DEP_1) | instskip(SKIP_1) | instid1(VALU_DEP_2)
	v_div_scale_f32 v7, null, v6, v6, v5
	v_div_scale_f32 v10, vcc_lo, v5, v6, v5
	v_rcp_f32_e32 v8, v7
	s_delay_alu instid0(TRANS32_DEP_1) | instskip(NEXT) | instid1(VALU_DEP_1)
	v_fma_f32 v9, -v7, v8, 1.0
	v_fmac_f32_e32 v8, v9, v8
	s_delay_alu instid0(VALU_DEP_1) | instskip(NEXT) | instid1(VALU_DEP_1)
	v_mul_f32_e32 v9, v10, v8
	v_fma_f32 v11, -v7, v9, v10
	s_delay_alu instid0(VALU_DEP_1) | instskip(NEXT) | instid1(VALU_DEP_1)
	v_fmac_f32_e32 v9, v11, v8
	v_fma_f32 v7, -v7, v9, v10
	s_wait_alu 0xfffd
	s_delay_alu instid0(VALU_DEP_1) | instskip(NEXT) | instid1(VALU_DEP_1)
	v_div_fmas_f32 v7, v7, v8, v9
	v_div_fixup_f32 v5, v7, v6, v5
	s_delay_alu instid0(VALU_DEP_1) | instskip(SKIP_1) | instid1(VALU_DEP_2)
	v_bfe_u32 v6, v5, 16, 1
	v_cmp_o_f32_e32 vcc_lo, v5, v5
	v_add3_u32 v6, v5, v6, 0x7fff
	s_delay_alu instid0(VALU_DEP_1) | instskip(SKIP_2) | instid1(VALU_DEP_1)
	v_and_b32_e32 v6, 0xffff0000, v6
	s_wait_loadcnt 0x0
	s_wait_alu 0xfffd
	v_dual_cndmask_b32 v5, 0x7fc00000, v6 :: v_dual_lshlrev_b32 v4, 16, v4
	v_add_co_u32 v0, vcc_lo, v0, s14
	s_wait_alu 0xfffd
	v_add_co_ci_u32_e64 v1, null, 0, v1, vcc_lo
	s_delay_alu instid0(VALU_DEP_3) | instskip(NEXT) | instid1(VALU_DEP_2)
	v_mul_f32_e32 v6, v5, v4
	v_cmp_le_i64_e64 s0, s[2:3], v[0:1]
	s_delay_alu instid0(VALU_DEP_2)
	v_bfe_u32 v4, v6, 16, 1
	v_cmp_o_f32_e64 s1, v6, v6
	s_or_b32 s10, s0, s10
	v_add3_u32 v7, v6, v4, 0x7fff
	v_add_co_u32 v4, vcc_lo, s4, v2
	s_wait_alu 0xfffd
	v_add_co_ci_u32_e64 v5, null, s5, v3, vcc_lo
	s_delay_alu instid0(VALU_DEP_3) | instskip(SKIP_3) | instid1(VALU_DEP_3)
	v_lshrrev_b32_e32 v7, 16, v7
	v_add_co_u32 v2, vcc_lo, v2, s11
	s_wait_alu 0xfffd
	v_add_co_ci_u32_e64 v3, null, 0, v3, vcc_lo
	v_cndmask_b32_e64 v6, 0x7fc0, v7, s1
	global_store_b16 v[4:5], v6, off
	s_wait_alu 0xfffe
	s_and_not1_b32 exec_lo, exec_lo, s10
	s_cbranch_execnz .LBB5_7
.LBB5_8:
	s_endpgm
	.section	.rodata,"a",@progbits
	.p2align	6, 0x0
	.amdhsa_kernel _ZN4vllm18act_and_mul_kernelIN3c108BFloat16ETnPFT_RKS3_EXadL_ZNS_11silu_kernelIS2_EES3_S5_EELb0EEEvPS3_PS4_i
		.amdhsa_group_segment_fixed_size 0
		.amdhsa_private_segment_fixed_size 0
		.amdhsa_kernarg_size 280
		.amdhsa_user_sgpr_count 2
		.amdhsa_user_sgpr_dispatch_ptr 0
		.amdhsa_user_sgpr_queue_ptr 0
		.amdhsa_user_sgpr_kernarg_segment_ptr 1
		.amdhsa_user_sgpr_dispatch_id 0
		.amdhsa_user_sgpr_private_segment_size 0
		.amdhsa_wavefront_size32 1
		.amdhsa_uses_dynamic_stack 0
		.amdhsa_enable_private_segment 0
		.amdhsa_system_sgpr_workgroup_id_x 1
		.amdhsa_system_sgpr_workgroup_id_y 0
		.amdhsa_system_sgpr_workgroup_id_z 0
		.amdhsa_system_sgpr_workgroup_info 0
		.amdhsa_system_vgpr_workitem_id 0
		.amdhsa_next_free_vgpr 29
		.amdhsa_next_free_sgpr 18
		.amdhsa_reserve_vcc 1
		.amdhsa_float_round_mode_32 0
		.amdhsa_float_round_mode_16_64 0
		.amdhsa_float_denorm_mode_32 3
		.amdhsa_float_denorm_mode_16_64 3
		.amdhsa_fp16_overflow 0
		.amdhsa_workgroup_processor_mode 1
		.amdhsa_memory_ordered 1
		.amdhsa_forward_progress 1
		.amdhsa_inst_pref_size 15
		.amdhsa_round_robin_scheduling 0
		.amdhsa_exception_fp_ieee_invalid_op 0
		.amdhsa_exception_fp_denorm_src 0
		.amdhsa_exception_fp_ieee_div_zero 0
		.amdhsa_exception_fp_ieee_overflow 0
		.amdhsa_exception_fp_ieee_underflow 0
		.amdhsa_exception_fp_ieee_inexact 0
		.amdhsa_exception_int_div_zero 0
	.end_amdhsa_kernel
	.section	.text._ZN4vllm18act_and_mul_kernelIN3c108BFloat16ETnPFT_RKS3_EXadL_ZNS_11silu_kernelIS2_EES3_S5_EELb0EEEvPS3_PS4_i,"axG",@progbits,_ZN4vllm18act_and_mul_kernelIN3c108BFloat16ETnPFT_RKS3_EXadL_ZNS_11silu_kernelIS2_EES3_S5_EELb0EEEvPS3_PS4_i,comdat
.Lfunc_end5:
	.size	_ZN4vllm18act_and_mul_kernelIN3c108BFloat16ETnPFT_RKS3_EXadL_ZNS_11silu_kernelIS2_EES3_S5_EELb0EEEvPS3_PS4_i, .Lfunc_end5-_ZN4vllm18act_and_mul_kernelIN3c108BFloat16ETnPFT_RKS3_EXadL_ZNS_11silu_kernelIS2_EES3_S5_EELb0EEEvPS3_PS4_i
                                        ; -- End function
	.set _ZN4vllm18act_and_mul_kernelIN3c108BFloat16ETnPFT_RKS3_EXadL_ZNS_11silu_kernelIS2_EES3_S5_EELb0EEEvPS3_PS4_i.num_vgpr, 29
	.set _ZN4vllm18act_and_mul_kernelIN3c108BFloat16ETnPFT_RKS3_EXadL_ZNS_11silu_kernelIS2_EES3_S5_EELb0EEEvPS3_PS4_i.num_agpr, 0
	.set _ZN4vllm18act_and_mul_kernelIN3c108BFloat16ETnPFT_RKS3_EXadL_ZNS_11silu_kernelIS2_EES3_S5_EELb0EEEvPS3_PS4_i.numbered_sgpr, 18
	.set _ZN4vllm18act_and_mul_kernelIN3c108BFloat16ETnPFT_RKS3_EXadL_ZNS_11silu_kernelIS2_EES3_S5_EELb0EEEvPS3_PS4_i.num_named_barrier, 0
	.set _ZN4vllm18act_and_mul_kernelIN3c108BFloat16ETnPFT_RKS3_EXadL_ZNS_11silu_kernelIS2_EES3_S5_EELb0EEEvPS3_PS4_i.private_seg_size, 0
	.set _ZN4vllm18act_and_mul_kernelIN3c108BFloat16ETnPFT_RKS3_EXadL_ZNS_11silu_kernelIS2_EES3_S5_EELb0EEEvPS3_PS4_i.uses_vcc, 1
	.set _ZN4vllm18act_and_mul_kernelIN3c108BFloat16ETnPFT_RKS3_EXadL_ZNS_11silu_kernelIS2_EES3_S5_EELb0EEEvPS3_PS4_i.uses_flat_scratch, 0
	.set _ZN4vllm18act_and_mul_kernelIN3c108BFloat16ETnPFT_RKS3_EXadL_ZNS_11silu_kernelIS2_EES3_S5_EELb0EEEvPS3_PS4_i.has_dyn_sized_stack, 0
	.set _ZN4vllm18act_and_mul_kernelIN3c108BFloat16ETnPFT_RKS3_EXadL_ZNS_11silu_kernelIS2_EES3_S5_EELb0EEEvPS3_PS4_i.has_recursion, 0
	.set _ZN4vllm18act_and_mul_kernelIN3c108BFloat16ETnPFT_RKS3_EXadL_ZNS_11silu_kernelIS2_EES3_S5_EELb0EEEvPS3_PS4_i.has_indirect_call, 0
	.section	.AMDGPU.csdata,"",@progbits
; Kernel info:
; codeLenInByte = 1904
; TotalNumSgprs: 20
; NumVgprs: 29
; ScratchSize: 0
; MemoryBound: 0
; FloatMode: 240
; IeeeMode: 1
; LDSByteSize: 0 bytes/workgroup (compile time only)
; SGPRBlocks: 0
; VGPRBlocks: 3
; NumSGPRsForWavesPerEU: 20
; NumVGPRsForWavesPerEU: 29
; Occupancy: 16
; WaveLimiterHint : 0
; COMPUTE_PGM_RSRC2:SCRATCH_EN: 0
; COMPUTE_PGM_RSRC2:USER_SGPR: 2
; COMPUTE_PGM_RSRC2:TRAP_HANDLER: 0
; COMPUTE_PGM_RSRC2:TGID_X_EN: 1
; COMPUTE_PGM_RSRC2:TGID_Y_EN: 0
; COMPUTE_PGM_RSRC2:TGID_Z_EN: 0
; COMPUTE_PGM_RSRC2:TIDIG_COMP_CNT: 0
	.section	.text._ZN4vllm18act_and_mul_kernelIfTnPFT_RKS1_EXadL_ZNS_11gelu_kernelIfEES1_S3_EELb1EEEvPS1_PS2_i,"axG",@progbits,_ZN4vllm18act_and_mul_kernelIfTnPFT_RKS1_EXadL_ZNS_11gelu_kernelIfEES1_S3_EELb1EEEvPS1_PS2_i,comdat
	.protected	_ZN4vllm18act_and_mul_kernelIfTnPFT_RKS1_EXadL_ZNS_11gelu_kernelIfEES1_S3_EELb1EEEvPS1_PS2_i ; -- Begin function _ZN4vllm18act_and_mul_kernelIfTnPFT_RKS1_EXadL_ZNS_11gelu_kernelIfEES1_S3_EELb1EEEvPS1_PS2_i
	.globl	_ZN4vllm18act_and_mul_kernelIfTnPFT_RKS1_EXadL_ZNS_11gelu_kernelIfEES1_S3_EELb1EEEvPS1_PS2_i
	.p2align	8
	.type	_ZN4vllm18act_and_mul_kernelIfTnPFT_RKS1_EXadL_ZNS_11gelu_kernelIfEES1_S3_EELb1EEEvPS1_PS2_i,@function
_ZN4vllm18act_and_mul_kernelIfTnPFT_RKS1_EXadL_ZNS_11gelu_kernelIfEES1_S3_EELb1EEEvPS1_PS2_i: ; @_ZN4vllm18act_and_mul_kernelIfTnPFT_RKS1_EXadL_ZNS_11gelu_kernelIfEES1_S3_EELb1EEEvPS1_PS2_i
; %bb.0:
	s_load_b32 s2, s[0:1], 0x10
	s_mov_b32 s3, exec_lo
	s_wait_kmcnt 0x0
	v_cmpx_gt_i32_e64 s2, v0
	s_cbranch_execz .LBB6_7
; %bb.1:
	s_clause 0x1
	s_load_b128 s[8:11], s[0:1], 0x0
	s_load_b32 s0, s[0:1], 0x24
	s_mov_b32 s4, ttmp9
	s_ashr_i32 s3, s2, 31
	s_mov_b32 s5, 0
	v_dual_mov_b32 v1, 0 :: v_dual_lshlrev_b32 v2, 2, v0
	s_wait_alu 0xfffe
	s_mul_u64 s[6:7], s[4:5], s[2:3]
	s_lshl_b64 s[12:13], s[2:3], 2
	s_lshl_b64 s[14:15], s[6:7], 3
	v_mov_b32_e32 v3, v1
	s_lshl_b64 s[16:17], s[6:7], 2
	s_mov_b32 s1, 0x378e98ab
	s_wait_kmcnt 0x0
	s_add_nc_u64 s[6:7], s[10:11], s[14:15]
	s_and_b32 s4, s0, 0xffff
	s_add_nc_u64 s[8:9], s[8:9], s[16:17]
	s_add_nc_u64 s[10:11], s[6:7], s[12:13]
	s_lshl_b32 s12, s4, 2
	s_mov_b32 s13, 0xba1345e1
	s_branch .LBB6_3
.LBB6_2:                                ;   in Loop: Header=BB6_3 Depth=1
	s_wait_alu 0xfffe
	s_or_b32 exec_lo, exec_lo, s0
	s_delay_alu instid0(VALU_DEP_1)
	v_bfi_b32 v6, 0x7fffffff, v7, v6
	v_mul_f32_e32 v5, 0.5, v5
	v_add_co_u32 v0, vcc_lo, v0, s4
	s_wait_alu 0xfffd
	v_add_co_ci_u32_e64 v1, null, 0, v1, vcc_lo
	v_add_f32_e32 v6, 1.0, v6
	s_delay_alu instid0(VALU_DEP_1)
	v_mul_f32_e32 v7, v5, v6
	v_add_co_u32 v5, vcc_lo, s8, v2
	s_wait_alu 0xfffd
	v_add_co_ci_u32_e64 v6, null, s9, v3, vcc_lo
	v_cmp_le_i64_e32 vcc_lo, s[2:3], v[0:1]
	v_add_co_u32 v2, s0, v2, s12
	s_wait_loadcnt 0x0
	v_mul_f32_e32 v4, v4, v7
	s_wait_alu 0xf1ff
	v_add_co_ci_u32_e64 v3, null, 0, v3, s0
	s_or_b32 s5, vcc_lo, s5
	global_store_b32 v[5:6], v4, off
	s_wait_alu 0xfffe
	s_and_not1_b32 exec_lo, exec_lo, s5
	s_cbranch_execz .LBB6_7
.LBB6_3:                                ; =>This Inner Loop Header: Depth=1
	v_add_co_u32 v4, vcc_lo, s6, v2
	s_wait_alu 0xfffd
	v_add_co_ci_u32_e64 v5, null, s7, v3, vcc_lo
	v_add_co_u32 v6, vcc_lo, s10, v2
	s_wait_alu 0xfffd
	v_add_co_ci_u32_e64 v7, null, s11, v3, vcc_lo
	s_clause 0x1
	global_load_b32 v5, v[4:5], off
	global_load_b32 v4, v[6:7], off
                                        ; implicit-def: $vgpr7
	s_wait_loadcnt 0x1
	v_mul_f32_e32 v6, 0x3f3504f3, v5
	s_delay_alu instid0(VALU_DEP_1) | instskip(SKIP_1) | instid1(SALU_CYCLE_1)
	v_cmp_nlt_f32_e64 s0, |v6|, 1.0
	s_and_saveexec_b32 s14, s0
	s_xor_b32 s0, exec_lo, s14
	s_cbranch_execz .LBB6_5
; %bb.4:                                ;   in Loop: Header=BB6_3 Depth=1
	v_fma_f32 v7, |v6|, s1, 0xb9c68948
	s_delay_alu instid0(VALU_DEP_1) | instskip(NEXT) | instid1(VALU_DEP_1)
	v_fma_f32 v7, |v6|, v7, 0x3b7cd369
	v_fma_f32 v7, |v6|, v7, 0xbcc618b2
	s_delay_alu instid0(VALU_DEP_1) | instskip(NEXT) | instid1(VALU_DEP_1)
	v_fma_f32 v7, |v6|, v7, 0x3dda74e4
	;; [unrolled: 3-line block ×3, first 2 shown]
	v_fma_f32 v7, |v6|, v7, |v6|
	s_delay_alu instid0(VALU_DEP_1) | instskip(SKIP_1) | instid1(VALU_DEP_2)
	v_mul_f32_e32 v8, 0xbfb8aa3b, v7
	v_cmp_nlt_f32_e32 vcc_lo, 0x42ce8ed0, v7
	v_fma_f32 v9, 0xbfb8aa3b, v7, -v8
	v_rndne_f32_e32 v10, v8
	s_delay_alu instid0(VALU_DEP_1) | instskip(NEXT) | instid1(VALU_DEP_1)
	v_dual_fmac_f32 v9, 0xb2a5705f, v7 :: v_dual_sub_f32 v8, v8, v10
	v_add_f32_e32 v8, v8, v9
	v_cvt_i32_f32_e32 v9, v10
	s_delay_alu instid0(VALU_DEP_2) | instskip(NEXT) | instid1(TRANS32_DEP_1)
	v_exp_f32_e32 v8, v8
	v_ldexp_f32 v8, v8, v9
	s_wait_alu 0xfffd
	s_delay_alu instid0(VALU_DEP_1) | instskip(SKIP_2) | instid1(VALU_DEP_2)
	v_cndmask_b32_e32 v8, 0, v8, vcc_lo
	v_cmp_ngt_f32_e32 vcc_lo, 0xc2b17218, v7
	s_wait_alu 0xfffd
	v_cndmask_b32_e32 v7, 0x7f800000, v8, vcc_lo
	s_delay_alu instid0(VALU_DEP_1)
	v_sub_f32_e32 v7, 1.0, v7
.LBB6_5:                                ;   in Loop: Header=BB6_3 Depth=1
	s_wait_alu 0xfffe
	s_and_not1_saveexec_b32 s0, s0
	s_cbranch_execz .LBB6_2
; %bb.6:                                ;   in Loop: Header=BB6_3 Depth=1
	v_mul_f32_e32 v7, v6, v6
	s_delay_alu instid0(VALU_DEP_1) | instskip(NEXT) | instid1(VALU_DEP_1)
	v_fmaak_f32 v8, s13, v7, 0x3ba10414
	v_fmaak_f32 v8, v7, v8, 0xbcdac9b8
	s_delay_alu instid0(VALU_DEP_1) | instskip(NEXT) | instid1(VALU_DEP_1)
	v_fmaak_f32 v8, v7, v8, 0x3de703be
	v_fmaak_f32 v8, v7, v8, 0xbec09330
	s_delay_alu instid0(VALU_DEP_1) | instskip(NEXT) | instid1(VALU_DEP_1)
	v_fmaak_f32 v7, v7, v8, 0x3e0375d0
	v_fma_f32 v7, |v6|, v7, |v6|
	s_branch .LBB6_2
.LBB6_7:
	s_endpgm
	.section	.rodata,"a",@progbits
	.p2align	6, 0x0
	.amdhsa_kernel _ZN4vllm18act_and_mul_kernelIfTnPFT_RKS1_EXadL_ZNS_11gelu_kernelIfEES1_S3_EELb1EEEvPS1_PS2_i
		.amdhsa_group_segment_fixed_size 0
		.amdhsa_private_segment_fixed_size 0
		.amdhsa_kernarg_size 280
		.amdhsa_user_sgpr_count 2
		.amdhsa_user_sgpr_dispatch_ptr 0
		.amdhsa_user_sgpr_queue_ptr 0
		.amdhsa_user_sgpr_kernarg_segment_ptr 1
		.amdhsa_user_sgpr_dispatch_id 0
		.amdhsa_user_sgpr_private_segment_size 0
		.amdhsa_wavefront_size32 1
		.amdhsa_uses_dynamic_stack 0
		.amdhsa_enable_private_segment 0
		.amdhsa_system_sgpr_workgroup_id_x 1
		.amdhsa_system_sgpr_workgroup_id_y 0
		.amdhsa_system_sgpr_workgroup_id_z 0
		.amdhsa_system_sgpr_workgroup_info 0
		.amdhsa_system_vgpr_workitem_id 0
		.amdhsa_next_free_vgpr 11
		.amdhsa_next_free_sgpr 18
		.amdhsa_reserve_vcc 1
		.amdhsa_float_round_mode_32 0
		.amdhsa_float_round_mode_16_64 0
		.amdhsa_float_denorm_mode_32 3
		.amdhsa_float_denorm_mode_16_64 3
		.amdhsa_fp16_overflow 0
		.amdhsa_workgroup_processor_mode 1
		.amdhsa_memory_ordered 1
		.amdhsa_forward_progress 1
		.amdhsa_inst_pref_size 6
		.amdhsa_round_robin_scheduling 0
		.amdhsa_exception_fp_ieee_invalid_op 0
		.amdhsa_exception_fp_denorm_src 0
		.amdhsa_exception_fp_ieee_div_zero 0
		.amdhsa_exception_fp_ieee_overflow 0
		.amdhsa_exception_fp_ieee_underflow 0
		.amdhsa_exception_fp_ieee_inexact 0
		.amdhsa_exception_int_div_zero 0
	.end_amdhsa_kernel
	.section	.text._ZN4vllm18act_and_mul_kernelIfTnPFT_RKS1_EXadL_ZNS_11gelu_kernelIfEES1_S3_EELb1EEEvPS1_PS2_i,"axG",@progbits,_ZN4vllm18act_and_mul_kernelIfTnPFT_RKS1_EXadL_ZNS_11gelu_kernelIfEES1_S3_EELb1EEEvPS1_PS2_i,comdat
.Lfunc_end6:
	.size	_ZN4vllm18act_and_mul_kernelIfTnPFT_RKS1_EXadL_ZNS_11gelu_kernelIfEES1_S3_EELb1EEEvPS1_PS2_i, .Lfunc_end6-_ZN4vllm18act_and_mul_kernelIfTnPFT_RKS1_EXadL_ZNS_11gelu_kernelIfEES1_S3_EELb1EEEvPS1_PS2_i
                                        ; -- End function
	.set _ZN4vllm18act_and_mul_kernelIfTnPFT_RKS1_EXadL_ZNS_11gelu_kernelIfEES1_S3_EELb1EEEvPS1_PS2_i.num_vgpr, 11
	.set _ZN4vllm18act_and_mul_kernelIfTnPFT_RKS1_EXadL_ZNS_11gelu_kernelIfEES1_S3_EELb1EEEvPS1_PS2_i.num_agpr, 0
	.set _ZN4vllm18act_and_mul_kernelIfTnPFT_RKS1_EXadL_ZNS_11gelu_kernelIfEES1_S3_EELb1EEEvPS1_PS2_i.numbered_sgpr, 18
	.set _ZN4vllm18act_and_mul_kernelIfTnPFT_RKS1_EXadL_ZNS_11gelu_kernelIfEES1_S3_EELb1EEEvPS1_PS2_i.num_named_barrier, 0
	.set _ZN4vllm18act_and_mul_kernelIfTnPFT_RKS1_EXadL_ZNS_11gelu_kernelIfEES1_S3_EELb1EEEvPS1_PS2_i.private_seg_size, 0
	.set _ZN4vllm18act_and_mul_kernelIfTnPFT_RKS1_EXadL_ZNS_11gelu_kernelIfEES1_S3_EELb1EEEvPS1_PS2_i.uses_vcc, 1
	.set _ZN4vllm18act_and_mul_kernelIfTnPFT_RKS1_EXadL_ZNS_11gelu_kernelIfEES1_S3_EELb1EEEvPS1_PS2_i.uses_flat_scratch, 0
	.set _ZN4vllm18act_and_mul_kernelIfTnPFT_RKS1_EXadL_ZNS_11gelu_kernelIfEES1_S3_EELb1EEEvPS1_PS2_i.has_dyn_sized_stack, 0
	.set _ZN4vllm18act_and_mul_kernelIfTnPFT_RKS1_EXadL_ZNS_11gelu_kernelIfEES1_S3_EELb1EEEvPS1_PS2_i.has_recursion, 0
	.set _ZN4vllm18act_and_mul_kernelIfTnPFT_RKS1_EXadL_ZNS_11gelu_kernelIfEES1_S3_EELb1EEEvPS1_PS2_i.has_indirect_call, 0
	.section	.AMDGPU.csdata,"",@progbits
; Kernel info:
; codeLenInByte = 676
; TotalNumSgprs: 20
; NumVgprs: 11
; ScratchSize: 0
; MemoryBound: 0
; FloatMode: 240
; IeeeMode: 1
; LDSByteSize: 0 bytes/workgroup (compile time only)
; SGPRBlocks: 0
; VGPRBlocks: 1
; NumSGPRsForWavesPerEU: 20
; NumVGPRsForWavesPerEU: 11
; Occupancy: 16
; WaveLimiterHint : 0
; COMPUTE_PGM_RSRC2:SCRATCH_EN: 0
; COMPUTE_PGM_RSRC2:USER_SGPR: 2
; COMPUTE_PGM_RSRC2:TRAP_HANDLER: 0
; COMPUTE_PGM_RSRC2:TGID_X_EN: 1
; COMPUTE_PGM_RSRC2:TGID_Y_EN: 0
; COMPUTE_PGM_RSRC2:TGID_Z_EN: 0
; COMPUTE_PGM_RSRC2:TIDIG_COMP_CNT: 0
	.section	.text._ZN4vllm18act_and_mul_kernelIN3c104HalfETnPFT_RKS3_EXadL_ZNS_11gelu_kernelIS2_EES3_S5_EELb1EEEvPS3_PS4_i,"axG",@progbits,_ZN4vllm18act_and_mul_kernelIN3c104HalfETnPFT_RKS3_EXadL_ZNS_11gelu_kernelIS2_EES3_S5_EELb1EEEvPS3_PS4_i,comdat
	.protected	_ZN4vllm18act_and_mul_kernelIN3c104HalfETnPFT_RKS3_EXadL_ZNS_11gelu_kernelIS2_EES3_S5_EELb1EEEvPS3_PS4_i ; -- Begin function _ZN4vllm18act_and_mul_kernelIN3c104HalfETnPFT_RKS3_EXadL_ZNS_11gelu_kernelIS2_EES3_S5_EELb1EEEvPS3_PS4_i
	.globl	_ZN4vllm18act_and_mul_kernelIN3c104HalfETnPFT_RKS3_EXadL_ZNS_11gelu_kernelIS2_EES3_S5_EELb1EEEvPS3_PS4_i
	.p2align	8
	.type	_ZN4vllm18act_and_mul_kernelIN3c104HalfETnPFT_RKS3_EXadL_ZNS_11gelu_kernelIS2_EES3_S5_EELb1EEEvPS3_PS4_i,@function
_ZN4vllm18act_and_mul_kernelIN3c104HalfETnPFT_RKS3_EXadL_ZNS_11gelu_kernelIS2_EES3_S5_EELb1EEEvPS3_PS4_i: ; @_ZN4vllm18act_and_mul_kernelIN3c104HalfETnPFT_RKS3_EXadL_ZNS_11gelu_kernelIS2_EES3_S5_EELb1EEEvPS3_PS4_i
; %bb.0:
	s_load_b32 s2, s[0:1], 0x10
	s_mov_b32 s3, exec_lo
	s_wait_kmcnt 0x0
	v_cmpx_gt_i32_e64 s2, v0
	s_cbranch_execz .LBB7_12
; %bb.1:
	v_dual_mov_b32 v1, 0 :: v_dual_add_nc_u32 v2, 1, v0
	s_clause 0x1
	s_load_b32 s8, s[0:1], 0x24
	s_load_b128 s[4:7], s[0:1], 0x0
	s_ashr_i32 s3, s2, 31
	v_mov_b32_e32 v3, v1
	s_mov_b32 s10, ttmp9
	s_mov_b32 s11, 0
	s_mov_b32 s0, -1
	s_wait_alu 0xfffe
	s_mul_u64 s[12:13], s[10:11], s[2:3]
	v_cmp_lt_i64_e32 vcc_lo, s[2:3], v[2:3]
	v_cndmask_b32_e32 v2, s2, v2, vcc_lo
	v_cndmask_b32_e64 v3, s3, 0, vcc_lo
	s_delay_alu instid0(VALU_DEP_2) | instskip(SKIP_1) | instid1(VALU_DEP_2)
	v_sub_co_u32 v2, vcc_lo, v2, v0
	s_wait_alu 0xfffd
	v_subrev_co_ci_u32_e64 v3, null, 0, v3, vcc_lo
	s_wait_kmcnt 0x0
	s_and_b32 s14, s8, 0xffff
	s_lshl_b64 s[8:9], s[12:13], 2
	s_cmp_eq_u32 s14, 1
	v_cmp_lt_u64_e32 vcc_lo, 1, v[2:3]
	s_cselect_b32 s1, -1, 0
	s_add_nc_u64 s[8:9], s[6:7], s[8:9]
	s_and_b32 s1, vcc_lo, s1
	s_delay_alu instid0(SALU_CYCLE_1)
	s_and_saveexec_b32 s15, s1
	s_cbranch_execz .LBB7_5
; %bb.2:
	v_lshlrev_b64_e32 v[10:11], 1, v[0:1]
	s_lshl_b64 s[0:1], s[10:11], 2
	s_lshl_b64 s[16:17], s[12:13], 1
	s_or_b32 s0, s0, 2
	s_add_nc_u64 s[16:17], s[4:5], s[16:17]
	s_mul_u64 s[0:1], s[0:1], s[2:3]
	v_add_co_u32 v6, vcc_lo, s16, v10
	s_add_nc_u64 s[0:1], s[6:7], s[0:1]
	v_dual_mov_b32 v5, v3 :: v_dual_and_b32 v4, -2, v2
	s_wait_alu 0xfffd
	v_add_co_ci_u32_e64 v7, null, s17, v11, vcc_lo
	v_add_co_u32 v8, vcc_lo, s0, v10
	s_wait_alu 0xfffd
	v_add_co_ci_u32_e64 v9, null, s1, v11, vcc_lo
	v_add_co_u32 v10, vcc_lo, s8, v10
	s_wait_alu 0xfffd
	v_add_co_ci_u32_e64 v11, null, s9, v11, vcc_lo
	v_dual_mov_b32 v13, v5 :: v_dual_mov_b32 v12, v4
	s_mov_b32 s6, 0x378e98ab
	s_mov_b32 s7, 0xba1345e1
.LBB7_3:                                ; =>This Inner Loop Header: Depth=1
	global_load_b32 v1, v[10:11], off
	global_load_b32 v14, v[8:9], off
	v_add_co_u32 v12, vcc_lo, v12, -2
	s_wait_alu 0xfffd
	v_add_co_ci_u32_e64 v13, null, -1, v13, vcc_lo
	v_add_co_u32 v8, vcc_lo, v8, 4
	s_wait_alu 0xfffd
	v_add_co_ci_u32_e64 v9, null, 0, v9, vcc_lo
	v_add_co_u32 v10, vcc_lo, v10, 4
	s_wait_alu 0xfffd
	v_add_co_ci_u32_e64 v11, null, 0, v11, vcc_lo
	v_cmp_eq_u64_e32 vcc_lo, 0, v[12:13]
	s_or_b32 s11, vcc_lo, s11
	s_wait_loadcnt 0x1
	v_lshrrev_b32_e32 v15, 16, v1
	v_cvt_f32_f16_e32 v1, v1
	s_delay_alu instid0(VALU_DEP_2) | instskip(NEXT) | instid1(VALU_DEP_1)
	v_cvt_f32_f16_e32 v15, v15
	v_dual_mul_f32 v16, 0x3f3504f3, v1 :: v_dual_mul_f32 v17, 0x3f3504f3, v15
	s_delay_alu instid0(VALU_DEP_1) | instskip(NEXT) | instid1(VALU_DEP_2)
	v_fma_f32 v18, |v16|, s6, 0xb9c68948
	v_fma_f32 v20, |v17|, s6, 0xb9c68948
	s_delay_alu instid0(VALU_DEP_2) | instskip(NEXT) | instid1(VALU_DEP_2)
	v_fma_f32 v18, |v16|, v18, 0x3b7cd369
	v_fma_f32 v20, |v17|, v20, 0x3b7cd369
	s_delay_alu instid0(VALU_DEP_2) | instskip(NEXT) | instid1(VALU_DEP_2)
	;; [unrolled: 3-line block ×5, first 2 shown]
	v_fma_f32 v18, |v16|, v18, 0x3e03c728
	v_fma_f32 v20, |v17|, v20, 0x3e03c728
	s_delay_alu instid0(VALU_DEP_2) | instskip(SKIP_2) | instid1(VALU_DEP_4)
	v_fma_f32 v18, |v16|, v18, |v16|
	v_mul_f32_e32 v19, v16, v16
	v_mul_f32_e32 v1, 0.5, v1
	v_fma_f32 v20, |v17|, v20, |v17|
	s_delay_alu instid0(VALU_DEP_4) | instskip(NEXT) | instid1(VALU_DEP_4)
	v_cmp_nlt_f32_e64 s0, 0x42ce8ed0, v18
	v_fmaak_f32 v22, s7, v19, 0x3ba10414
	v_mul_f32_e32 v15, 0.5, v15
	s_delay_alu instid0(VALU_DEP_4) | instskip(NEXT) | instid1(VALU_DEP_3)
	v_cmp_nlt_f32_e64 s1, 0x42ce8ed0, v20
	v_dual_fmaak_f32 v22, v19, v22, 0xbcdac9b8 :: v_dual_mul_f32 v21, v17, v17
	s_delay_alu instid0(VALU_DEP_1) | instskip(NEXT) | instid1(VALU_DEP_1)
	v_fmaak_f32 v22, v19, v22, 0x3de703be
	v_fmaak_f32 v22, v19, v22, 0xbec09330
	s_delay_alu instid0(VALU_DEP_1) | instskip(SKIP_1) | instid1(VALU_DEP_1)
	v_fmaak_f32 v19, v19, v22, 0x3e0375d0
	v_mul_f32_e32 v22, 0xbfb8aa3b, v18
	v_fma_f32 v24, 0xbfb8aa3b, v18, -v22
	v_rndne_f32_e32 v25, v22
	s_delay_alu instid0(VALU_DEP_2) | instskip(NEXT) | instid1(VALU_DEP_2)
	v_fmac_f32_e32 v24, 0xb2a5705f, v18
	v_sub_f32_e32 v22, v22, v25
	v_fmaak_f32 v23, s7, v21, 0x3ba10414
	v_cvt_i32_f32_e32 v25, v25
	v_fma_f32 v19, |v16|, v19, |v16|
	s_delay_alu instid0(VALU_DEP_4) | instskip(NEXT) | instid1(VALU_DEP_1)
	v_add_f32_e32 v22, v22, v24
	v_exp_f32_e32 v22, v22
	s_delay_alu instid0(TRANS32_DEP_1) | instskip(SKIP_1) | instid1(VALU_DEP_1)
	v_ldexp_f32 v22, v22, v25
	s_wait_alu 0xf1ff
	v_cndmask_b32_e64 v22, 0, v22, s0
	v_cmp_ngt_f32_e64 s0, 0xc2b17218, v18
	s_wait_alu 0xf1ff
	s_delay_alu instid0(VALU_DEP_1) | instskip(SKIP_2) | instid1(VALU_DEP_2)
	v_cndmask_b32_e64 v22, 0x7f800000, v22, s0
	v_fmaak_f32 v23, v21, v23, 0xbcdac9b8
	v_cmp_ngt_f32_e64 s0, 0xc2b17218, v20
	v_fmaak_f32 v23, v21, v23, 0x3de703be
	s_delay_alu instid0(VALU_DEP_1) | instskip(NEXT) | instid1(VALU_DEP_1)
	v_fmaak_f32 v23, v21, v23, 0xbec09330
	v_fmaak_f32 v21, v21, v23, 0x3e0375d0
	v_mul_f32_e32 v23, 0xbfb8aa3b, v20
	s_delay_alu instid0(VALU_DEP_1) | instskip(SKIP_1) | instid1(VALU_DEP_1)
	v_fma_f32 v26, 0xbfb8aa3b, v20, -v23
	v_rndne_f32_e32 v27, v23
	v_dual_fmac_f32 v26, 0xb2a5705f, v20 :: v_dual_sub_f32 v23, v23, v27
	v_cvt_i32_f32_e32 v24, v27
	v_sub_f32_e32 v20, 1.0, v22
	s_delay_alu instid0(VALU_DEP_3) | instskip(NEXT) | instid1(VALU_DEP_1)
	v_add_f32_e32 v23, v23, v26
	v_exp_f32_e32 v23, v23
	s_delay_alu instid0(TRANS32_DEP_1) | instskip(NEXT) | instid1(VALU_DEP_1)
	v_ldexp_f32 v23, v23, v24
	v_cndmask_b32_e64 v18, 0, v23, s1
	s_wait_alu 0xf1ff
	s_delay_alu instid0(VALU_DEP_1) | instskip(SKIP_1) | instid1(VALU_DEP_2)
	v_cndmask_b32_e64 v18, 0x7f800000, v18, s0
	v_cmp_lt_f32_e64 s0, |v16|, 1.0
	v_sub_f32_e32 v18, 1.0, v18
	s_wait_alu 0xf1ff
	s_delay_alu instid0(VALU_DEP_2) | instskip(SKIP_1) | instid1(VALU_DEP_2)
	v_cndmask_b32_e64 v19, v20, v19, s0
	v_cmp_lt_f32_e64 s0, |v17|, 1.0
	v_bfi_b32 v16, 0x7fffffff, v19, v16
	s_delay_alu instid0(VALU_DEP_1) | instskip(SKIP_1) | instid1(VALU_DEP_2)
	v_add_f32_e32 v16, 1.0, v16
	v_fma_f32 v21, |v17|, v21, |v17|
	v_fma_mixlo_f16 v1, v1, v16, 0
	s_wait_alu 0xf1ff
	s_delay_alu instid0(VALU_DEP_2) | instskip(NEXT) | instid1(VALU_DEP_1)
	v_cndmask_b32_e64 v18, v18, v21, s0
	v_bfi_b32 v17, 0x7fffffff, v18, v17
	s_delay_alu instid0(VALU_DEP_1) | instskip(NEXT) | instid1(VALU_DEP_1)
	v_add_f32_e32 v17, 1.0, v17
	v_fma_mixhi_f16 v1, v15, v17, 0
	s_wait_loadcnt 0x0
	s_delay_alu instid0(VALU_DEP_1)
	v_pk_mul_f16 v1, v14, v1
	global_store_b32 v[6:7], v1, off
	v_add_co_u32 v6, s0, v6, 4
	s_wait_alu 0xf1ff
	v_add_co_ci_u32_e64 v7, null, 0, v7, s0
	s_and_not1_b32 exec_lo, exec_lo, s11
	s_cbranch_execnz .LBB7_3
; %bb.4:
	s_or_b32 exec_lo, exec_lo, s11
	v_cmp_ne_u64_e32 vcc_lo, v[2:3], v[4:5]
	v_add_co_u32 v0, s0, v4, v0
	s_wait_alu 0xf1ff
	v_add_co_ci_u32_e64 v1, null, 0, v5, s0
	s_or_not1_b32 s0, vcc_lo, exec_lo
.LBB7_5:
	s_or_b32 exec_lo, exec_lo, s15
	s_wait_alu 0xfffe
	s_and_b32 exec_lo, exec_lo, s0
	s_cbranch_execz .LBB7_12
; %bb.6:
	v_lshlrev_b64_e32 v[2:3], 1, v[0:1]
	s_lshl_b64 s[0:1], s[2:3], 1
	s_lshl_b64 s[10:11], s[12:13], 1
	s_wait_alu 0xfffe
	s_add_nc_u64 s[6:7], s[8:9], s[0:1]
	s_add_nc_u64 s[4:5], s[4:5], s[10:11]
	s_mov_b32 s1, 0
	s_lshl_b32 s10, s14, 1
	s_mov_b32 s11, 0x378e98ab
	s_mov_b32 s12, 0xba1345e1
	s_branch .LBB7_8
.LBB7_7:                                ;   in Loop: Header=BB7_8 Depth=1
	s_wait_alu 0xfffe
	s_or_b32 exec_lo, exec_lo, s0
	s_delay_alu instid0(VALU_DEP_1)
	v_bfi_b32 v6, 0x7fffffff, v7, v6
	v_mul_f32_e32 v5, 0.5, v5
	v_add_co_u32 v0, vcc_lo, v0, s14
	s_wait_alu 0xfffd
	v_add_co_ci_u32_e64 v1, null, 0, v1, vcc_lo
	v_add_f32_e32 v6, 1.0, v6
	s_delay_alu instid0(VALU_DEP_1)
	v_fma_mixlo_f16 v7, v5, v6, 0
	v_add_co_u32 v5, vcc_lo, s4, v2
	s_wait_alu 0xfffd
	v_add_co_ci_u32_e64 v6, null, s5, v3, vcc_lo
	v_cmp_le_i64_e32 vcc_lo, s[2:3], v[0:1]
	v_add_co_u32 v2, s0, v2, s10
	s_wait_loadcnt 0x0
	v_mul_f16_e32 v4, v4, v7
	s_wait_alu 0xf1ff
	v_add_co_ci_u32_e64 v3, null, 0, v3, s0
	s_or_b32 s1, vcc_lo, s1
	global_store_b16 v[5:6], v4, off
	s_wait_alu 0xfffe
	s_and_not1_b32 exec_lo, exec_lo, s1
	s_cbranch_execz .LBB7_12
.LBB7_8:                                ; =>This Inner Loop Header: Depth=1
	v_add_co_u32 v4, vcc_lo, s8, v2
	s_wait_alu 0xfffd
	v_add_co_ci_u32_e64 v5, null, s9, v3, vcc_lo
                                        ; implicit-def: $vgpr7
	global_load_u16 v6, v[4:5], off
	s_wait_alu 0xfffe
	v_add_co_u32 v4, vcc_lo, s6, v2
	s_wait_alu 0xfffd
	v_add_co_ci_u32_e64 v5, null, s7, v3, vcc_lo
	global_load_u16 v4, v[4:5], off
	s_wait_loadcnt 0x1
	v_cvt_f32_f16_e32 v5, v6
	s_delay_alu instid0(VALU_DEP_1) | instskip(NEXT) | instid1(VALU_DEP_1)
	v_mul_f32_e32 v6, 0x3f3504f3, v5
	v_cmp_nlt_f32_e64 s0, |v6|, 1.0
	s_and_saveexec_b32 s13, s0
	s_wait_alu 0xfffe
	s_xor_b32 s0, exec_lo, s13
	s_cbranch_execz .LBB7_10
; %bb.9:                                ;   in Loop: Header=BB7_8 Depth=1
	v_fma_f32 v7, |v6|, s11, 0xb9c68948
	s_delay_alu instid0(VALU_DEP_1) | instskip(NEXT) | instid1(VALU_DEP_1)
	v_fma_f32 v7, |v6|, v7, 0x3b7cd369
	v_fma_f32 v7, |v6|, v7, 0xbcc618b2
	s_delay_alu instid0(VALU_DEP_1) | instskip(NEXT) | instid1(VALU_DEP_1)
	v_fma_f32 v7, |v6|, v7, 0x3dda74e4
	;; [unrolled: 3-line block ×3, first 2 shown]
	v_fma_f32 v7, |v6|, v7, |v6|
	s_delay_alu instid0(VALU_DEP_1) | instskip(SKIP_1) | instid1(VALU_DEP_2)
	v_mul_f32_e32 v8, 0xbfb8aa3b, v7
	v_cmp_nlt_f32_e32 vcc_lo, 0x42ce8ed0, v7
	v_fma_f32 v9, 0xbfb8aa3b, v7, -v8
	v_rndne_f32_e32 v10, v8
	s_delay_alu instid0(VALU_DEP_1) | instskip(NEXT) | instid1(VALU_DEP_1)
	v_dual_fmac_f32 v9, 0xb2a5705f, v7 :: v_dual_sub_f32 v8, v8, v10
	v_add_f32_e32 v8, v8, v9
	v_cvt_i32_f32_e32 v9, v10
	s_delay_alu instid0(VALU_DEP_2) | instskip(NEXT) | instid1(TRANS32_DEP_1)
	v_exp_f32_e32 v8, v8
	v_ldexp_f32 v8, v8, v9
	s_wait_alu 0xfffd
	s_delay_alu instid0(VALU_DEP_1) | instskip(SKIP_2) | instid1(VALU_DEP_2)
	v_cndmask_b32_e32 v8, 0, v8, vcc_lo
	v_cmp_ngt_f32_e32 vcc_lo, 0xc2b17218, v7
	s_wait_alu 0xfffd
	v_cndmask_b32_e32 v7, 0x7f800000, v8, vcc_lo
	s_delay_alu instid0(VALU_DEP_1)
	v_sub_f32_e32 v7, 1.0, v7
.LBB7_10:                               ;   in Loop: Header=BB7_8 Depth=1
	s_wait_alu 0xfffe
	s_and_not1_saveexec_b32 s0, s0
	s_cbranch_execz .LBB7_7
; %bb.11:                               ;   in Loop: Header=BB7_8 Depth=1
	v_mul_f32_e32 v7, v6, v6
	s_delay_alu instid0(VALU_DEP_1) | instskip(NEXT) | instid1(VALU_DEP_1)
	v_fmaak_f32 v8, s12, v7, 0x3ba10414
	v_fmaak_f32 v8, v7, v8, 0xbcdac9b8
	s_delay_alu instid0(VALU_DEP_1) | instskip(NEXT) | instid1(VALU_DEP_1)
	v_fmaak_f32 v8, v7, v8, 0x3de703be
	v_fmaak_f32 v8, v7, v8, 0xbec09330
	s_delay_alu instid0(VALU_DEP_1) | instskip(NEXT) | instid1(VALU_DEP_1)
	v_fmaak_f32 v7, v7, v8, 0x3e0375d0
	v_fma_f32 v7, |v6|, v7, |v6|
	s_branch .LBB7_7
.LBB7_12:
	s_endpgm
	.section	.rodata,"a",@progbits
	.p2align	6, 0x0
	.amdhsa_kernel _ZN4vllm18act_and_mul_kernelIN3c104HalfETnPFT_RKS3_EXadL_ZNS_11gelu_kernelIS2_EES3_S5_EELb1EEEvPS3_PS4_i
		.amdhsa_group_segment_fixed_size 0
		.amdhsa_private_segment_fixed_size 0
		.amdhsa_kernarg_size 280
		.amdhsa_user_sgpr_count 2
		.amdhsa_user_sgpr_dispatch_ptr 0
		.amdhsa_user_sgpr_queue_ptr 0
		.amdhsa_user_sgpr_kernarg_segment_ptr 1
		.amdhsa_user_sgpr_dispatch_id 0
		.amdhsa_user_sgpr_private_segment_size 0
		.amdhsa_wavefront_size32 1
		.amdhsa_uses_dynamic_stack 0
		.amdhsa_enable_private_segment 0
		.amdhsa_system_sgpr_workgroup_id_x 1
		.amdhsa_system_sgpr_workgroup_id_y 0
		.amdhsa_system_sgpr_workgroup_id_z 0
		.amdhsa_system_sgpr_workgroup_info 0
		.amdhsa_system_vgpr_workitem_id 0
		.amdhsa_next_free_vgpr 28
		.amdhsa_next_free_sgpr 18
		.amdhsa_reserve_vcc 1
		.amdhsa_float_round_mode_32 0
		.amdhsa_float_round_mode_16_64 0
		.amdhsa_float_denorm_mode_32 3
		.amdhsa_float_denorm_mode_16_64 3
		.amdhsa_fp16_overflow 0
		.amdhsa_workgroup_processor_mode 1
		.amdhsa_memory_ordered 1
		.amdhsa_forward_progress 1
		.amdhsa_inst_pref_size 15
		.amdhsa_round_robin_scheduling 0
		.amdhsa_exception_fp_ieee_invalid_op 0
		.amdhsa_exception_fp_denorm_src 0
		.amdhsa_exception_fp_ieee_div_zero 0
		.amdhsa_exception_fp_ieee_overflow 0
		.amdhsa_exception_fp_ieee_underflow 0
		.amdhsa_exception_fp_ieee_inexact 0
		.amdhsa_exception_int_div_zero 0
	.end_amdhsa_kernel
	.section	.text._ZN4vllm18act_and_mul_kernelIN3c104HalfETnPFT_RKS3_EXadL_ZNS_11gelu_kernelIS2_EES3_S5_EELb1EEEvPS3_PS4_i,"axG",@progbits,_ZN4vllm18act_and_mul_kernelIN3c104HalfETnPFT_RKS3_EXadL_ZNS_11gelu_kernelIS2_EES3_S5_EELb1EEEvPS3_PS4_i,comdat
.Lfunc_end7:
	.size	_ZN4vllm18act_and_mul_kernelIN3c104HalfETnPFT_RKS3_EXadL_ZNS_11gelu_kernelIS2_EES3_S5_EELb1EEEvPS3_PS4_i, .Lfunc_end7-_ZN4vllm18act_and_mul_kernelIN3c104HalfETnPFT_RKS3_EXadL_ZNS_11gelu_kernelIS2_EES3_S5_EELb1EEEvPS3_PS4_i
                                        ; -- End function
	.set _ZN4vllm18act_and_mul_kernelIN3c104HalfETnPFT_RKS3_EXadL_ZNS_11gelu_kernelIS2_EES3_S5_EELb1EEEvPS3_PS4_i.num_vgpr, 28
	.set _ZN4vllm18act_and_mul_kernelIN3c104HalfETnPFT_RKS3_EXadL_ZNS_11gelu_kernelIS2_EES3_S5_EELb1EEEvPS3_PS4_i.num_agpr, 0
	.set _ZN4vllm18act_and_mul_kernelIN3c104HalfETnPFT_RKS3_EXadL_ZNS_11gelu_kernelIS2_EES3_S5_EELb1EEEvPS3_PS4_i.numbered_sgpr, 18
	.set _ZN4vllm18act_and_mul_kernelIN3c104HalfETnPFT_RKS3_EXadL_ZNS_11gelu_kernelIS2_EES3_S5_EELb1EEEvPS3_PS4_i.num_named_barrier, 0
	.set _ZN4vllm18act_and_mul_kernelIN3c104HalfETnPFT_RKS3_EXadL_ZNS_11gelu_kernelIS2_EES3_S5_EELb1EEEvPS3_PS4_i.private_seg_size, 0
	.set _ZN4vllm18act_and_mul_kernelIN3c104HalfETnPFT_RKS3_EXadL_ZNS_11gelu_kernelIS2_EES3_S5_EELb1EEEvPS3_PS4_i.uses_vcc, 1
	.set _ZN4vllm18act_and_mul_kernelIN3c104HalfETnPFT_RKS3_EXadL_ZNS_11gelu_kernelIS2_EES3_S5_EELb1EEEvPS3_PS4_i.uses_flat_scratch, 0
	.set _ZN4vllm18act_and_mul_kernelIN3c104HalfETnPFT_RKS3_EXadL_ZNS_11gelu_kernelIS2_EES3_S5_EELb1EEEvPS3_PS4_i.has_dyn_sized_stack, 0
	.set _ZN4vllm18act_and_mul_kernelIN3c104HalfETnPFT_RKS3_EXadL_ZNS_11gelu_kernelIS2_EES3_S5_EELb1EEEvPS3_PS4_i.has_recursion, 0
	.set _ZN4vllm18act_and_mul_kernelIN3c104HalfETnPFT_RKS3_EXadL_ZNS_11gelu_kernelIS2_EES3_S5_EELb1EEEvPS3_PS4_i.has_indirect_call, 0
	.section	.AMDGPU.csdata,"",@progbits
; Kernel info:
; codeLenInByte = 1796
; TotalNumSgprs: 20
; NumVgprs: 28
; ScratchSize: 0
; MemoryBound: 0
; FloatMode: 240
; IeeeMode: 1
; LDSByteSize: 0 bytes/workgroup (compile time only)
; SGPRBlocks: 0
; VGPRBlocks: 3
; NumSGPRsForWavesPerEU: 20
; NumVGPRsForWavesPerEU: 28
; Occupancy: 16
; WaveLimiterHint : 0
; COMPUTE_PGM_RSRC2:SCRATCH_EN: 0
; COMPUTE_PGM_RSRC2:USER_SGPR: 2
; COMPUTE_PGM_RSRC2:TRAP_HANDLER: 0
; COMPUTE_PGM_RSRC2:TGID_X_EN: 1
; COMPUTE_PGM_RSRC2:TGID_Y_EN: 0
; COMPUTE_PGM_RSRC2:TGID_Z_EN: 0
; COMPUTE_PGM_RSRC2:TIDIG_COMP_CNT: 0
	.section	.text._ZN4vllm18act_and_mul_kernelIN3c108BFloat16ETnPFT_RKS3_EXadL_ZNS_11gelu_kernelIS2_EES3_S5_EELb1EEEvPS3_PS4_i,"axG",@progbits,_ZN4vllm18act_and_mul_kernelIN3c108BFloat16ETnPFT_RKS3_EXadL_ZNS_11gelu_kernelIS2_EES3_S5_EELb1EEEvPS3_PS4_i,comdat
	.protected	_ZN4vllm18act_and_mul_kernelIN3c108BFloat16ETnPFT_RKS3_EXadL_ZNS_11gelu_kernelIS2_EES3_S5_EELb1EEEvPS3_PS4_i ; -- Begin function _ZN4vllm18act_and_mul_kernelIN3c108BFloat16ETnPFT_RKS3_EXadL_ZNS_11gelu_kernelIS2_EES3_S5_EELb1EEEvPS3_PS4_i
	.globl	_ZN4vllm18act_and_mul_kernelIN3c108BFloat16ETnPFT_RKS3_EXadL_ZNS_11gelu_kernelIS2_EES3_S5_EELb1EEEvPS3_PS4_i
	.p2align	8
	.type	_ZN4vllm18act_and_mul_kernelIN3c108BFloat16ETnPFT_RKS3_EXadL_ZNS_11gelu_kernelIS2_EES3_S5_EELb1EEEvPS3_PS4_i,@function
_ZN4vllm18act_and_mul_kernelIN3c108BFloat16ETnPFT_RKS3_EXadL_ZNS_11gelu_kernelIS2_EES3_S5_EELb1EEEvPS3_PS4_i: ; @_ZN4vllm18act_and_mul_kernelIN3c108BFloat16ETnPFT_RKS3_EXadL_ZNS_11gelu_kernelIS2_EES3_S5_EELb1EEEvPS3_PS4_i
; %bb.0:
	s_load_b32 s2, s[0:1], 0x10
	s_mov_b32 s3, exec_lo
	s_wait_kmcnt 0x0
	v_cmpx_gt_i32_e64 s2, v0
	s_cbranch_execz .LBB8_12
; %bb.1:
	v_dual_mov_b32 v1, 0 :: v_dual_add_nc_u32 v2, 1, v0
	s_clause 0x1
	s_load_b32 s8, s[0:1], 0x24
	s_load_b128 s[4:7], s[0:1], 0x0
	s_ashr_i32 s3, s2, 31
	v_mov_b32_e32 v3, v1
	s_mov_b32 s10, ttmp9
	s_mov_b32 s11, 0
	s_mov_b32 s0, -1
	s_wait_alu 0xfffe
	s_mul_u64 s[12:13], s[10:11], s[2:3]
	v_cmp_lt_i64_e32 vcc_lo, s[2:3], v[2:3]
	v_cndmask_b32_e32 v2, s2, v2, vcc_lo
	v_cndmask_b32_e64 v3, s3, 0, vcc_lo
	s_delay_alu instid0(VALU_DEP_2) | instskip(SKIP_1) | instid1(VALU_DEP_2)
	v_sub_co_u32 v2, vcc_lo, v2, v0
	s_wait_alu 0xfffd
	v_subrev_co_ci_u32_e64 v3, null, 0, v3, vcc_lo
	s_wait_kmcnt 0x0
	s_and_b32 s14, s8, 0xffff
	s_lshl_b64 s[8:9], s[12:13], 2
	s_cmp_eq_u32 s14, 1
	v_cmp_lt_u64_e32 vcc_lo, 1, v[2:3]
	s_cselect_b32 s1, -1, 0
	s_add_nc_u64 s[8:9], s[6:7], s[8:9]
	s_and_b32 s1, vcc_lo, s1
	s_delay_alu instid0(SALU_CYCLE_1)
	s_and_saveexec_b32 s15, s1
	s_cbranch_execz .LBB8_5
; %bb.2:
	v_lshlrev_b64_e32 v[10:11], 1, v[0:1]
	s_lshl_b64 s[0:1], s[10:11], 2
	s_lshl_b64 s[16:17], s[12:13], 1
	s_or_b32 s0, s0, 2
	s_add_nc_u64 s[16:17], s[4:5], s[16:17]
	s_mul_u64 s[0:1], s[0:1], s[2:3]
	v_add_co_u32 v6, vcc_lo, s16, v10
	s_add_nc_u64 s[0:1], s[6:7], s[0:1]
	v_dual_mov_b32 v5, v3 :: v_dual_and_b32 v4, -2, v2
	s_wait_alu 0xfffd
	v_add_co_ci_u32_e64 v7, null, s17, v11, vcc_lo
	v_add_co_u32 v8, vcc_lo, s0, v10
	s_wait_alu 0xfffd
	v_add_co_ci_u32_e64 v9, null, s1, v11, vcc_lo
	v_add_co_u32 v10, vcc_lo, s8, v10
	s_wait_alu 0xfffd
	v_add_co_ci_u32_e64 v11, null, s9, v11, vcc_lo
	v_dual_mov_b32 v13, v5 :: v_dual_mov_b32 v12, v4
	s_mov_b32 s6, 0x378e98ab
	s_mov_b32 s7, 0xba1345e1
.LBB8_3:                                ; =>This Inner Loop Header: Depth=1
	global_load_b32 v1, v[10:11], off
	global_load_b32 v14, v[8:9], off
	v_add_co_u32 v12, vcc_lo, v12, -2
	s_wait_alu 0xfffd
	v_add_co_ci_u32_e64 v13, null, -1, v13, vcc_lo
	v_add_co_u32 v8, vcc_lo, v8, 4
	s_wait_alu 0xfffd
	v_add_co_ci_u32_e64 v9, null, 0, v9, vcc_lo
	v_add_co_u32 v10, vcc_lo, v10, 4
	s_wait_alu 0xfffd
	v_add_co_ci_u32_e64 v11, null, 0, v11, vcc_lo
	v_cmp_eq_u64_e32 vcc_lo, 0, v[12:13]
	s_or_b32 s11, vcc_lo, s11
	s_wait_loadcnt 0x1
	v_and_b32_e32 v15, 0xffff0000, v1
	s_delay_alu instid0(VALU_DEP_1) | instskip(NEXT) | instid1(VALU_DEP_1)
	v_mul_f32_e32 v17, 0x3f3504f3, v15
	v_mul_f32_e32 v22, v17, v17
	s_delay_alu instid0(VALU_DEP_1) | instskip(NEXT) | instid1(VALU_DEP_1)
	v_dual_fmaak_f32 v24, s7, v22, 0x3ba10414 :: v_dual_lshlrev_b32 v1, 16, v1
	v_mul_f32_e32 v18, 0x3f3504f3, v1
	v_fma_f32 v19, |v17|, s6, 0xb9c68948
	s_delay_alu instid0(VALU_DEP_3) | instskip(NEXT) | instid1(VALU_DEP_3)
	v_dual_mul_f32 v1, 0.5, v1 :: v_dual_fmaak_f32 v24, v22, v24, 0xbcdac9b8
	v_fma_f32 v20, |v18|, s6, 0xb9c68948
	s_delay_alu instid0(VALU_DEP_3) | instskip(NEXT) | instid1(VALU_DEP_3)
	v_fma_f32 v19, |v17|, v19, 0x3b7cd369
	v_fmaak_f32 v24, v22, v24, 0x3de703be
	s_delay_alu instid0(VALU_DEP_3) | instskip(NEXT) | instid1(VALU_DEP_3)
	v_fma_f32 v20, |v18|, v20, 0x3b7cd369
	v_fma_f32 v19, |v17|, v19, 0xbcc618b2
	s_delay_alu instid0(VALU_DEP_3) | instskip(NEXT) | instid1(VALU_DEP_3)
	v_fmaak_f32 v24, v22, v24, 0xbec09330
	v_fma_f32 v20, |v18|, v20, 0xbcc618b2
	s_delay_alu instid0(VALU_DEP_3) | instskip(NEXT) | instid1(VALU_DEP_3)
	v_fma_f32 v19, |v17|, v19, 0x3dda74e4
	v_fmaak_f32 v22, v22, v24, 0x3e0375d0
	s_delay_alu instid0(VALU_DEP_3) | instskip(NEXT) | instid1(VALU_DEP_3)
	v_fma_f32 v20, |v18|, v20, 0x3dda74e4
	v_fma_f32 v19, |v17|, v19, 0x3f228afd
	s_delay_alu instid0(VALU_DEP_2) | instskip(NEXT) | instid1(VALU_DEP_2)
	v_fma_f32 v20, |v18|, v20, 0x3f228afd
	v_fma_f32 v19, |v17|, v19, 0x3e03c728
	s_delay_alu instid0(VALU_DEP_2) | instskip(NEXT) | instid1(VALU_DEP_2)
	v_fma_f32 v20, |v18|, v20, 0x3e03c728
	v_fma_f32 v19, |v17|, v19, |v17|
	s_delay_alu instid0(VALU_DEP_2) | instskip(SKIP_1) | instid1(VALU_DEP_3)
	v_fma_f32 v20, |v18|, v20, |v18|
	v_mul_f32_e32 v21, v18, v18
	v_cmp_nlt_f32_e64 s0, 0x42ce8ed0, v19
	s_delay_alu instid0(VALU_DEP_3) | instskip(SKIP_1) | instid1(VALU_DEP_2)
	v_mul_f32_e32 v24, 0xbfb8aa3b, v20
	v_cmp_nlt_f32_e64 s1, 0x42ce8ed0, v20
	v_fma_f32 v26, 0xbfb8aa3b, v20, -v24
	v_rndne_f32_e32 v27, v24
	s_delay_alu instid0(VALU_DEP_1)
	v_sub_f32_e32 v24, v24, v27
	s_wait_loadcnt 0x0
	v_dual_mul_f32 v15, 0.5, v15 :: v_dual_and_b32 v16, 0xffff0000, v14
	v_fmac_f32_e32 v26, 0xb2a5705f, v20
	v_fmaak_f32 v23, s7, v21, 0x3ba10414
	v_cvt_i32_f32_e32 v27, v27
	v_lshlrev_b32_e32 v14, 16, v14
	s_delay_alu instid0(VALU_DEP_3) | instskip(NEXT) | instid1(VALU_DEP_1)
	v_dual_add_f32 v24, v24, v26 :: v_dual_fmaak_f32 v23, v21, v23, 0xbcdac9b8
	v_exp_f32_e32 v24, v24
	s_delay_alu instid0(VALU_DEP_1) | instskip(NEXT) | instid1(VALU_DEP_1)
	v_fmaak_f32 v23, v21, v23, 0x3de703be
	v_fmaak_f32 v23, v21, v23, 0xbec09330
	s_delay_alu instid0(TRANS32_DEP_1) | instskip(NEXT) | instid1(VALU_DEP_2)
	v_ldexp_f32 v24, v24, v27
	v_fmaak_f32 v21, v21, v23, 0x3e0375d0
	v_mul_f32_e32 v23, 0xbfb8aa3b, v19
	s_wait_alu 0xf1ff
	s_delay_alu instid0(VALU_DEP_3) | instskip(SKIP_1) | instid1(VALU_DEP_3)
	v_cndmask_b32_e64 v24, 0, v24, s1
	v_cmp_ngt_f32_e64 s1, 0xc2b17218, v20
	v_fma_f32 v25, 0xbfb8aa3b, v19, -v23
	v_rndne_f32_e32 v28, v23
	v_fma_f32 v21, |v18|, v21, |v18|
	s_delay_alu instid0(VALU_DEP_3) | instskip(NEXT) | instid1(VALU_DEP_3)
	v_fmac_f32_e32 v25, 0xb2a5705f, v19
	v_sub_f32_e32 v23, v23, v28
	s_delay_alu instid0(VALU_DEP_1) | instskip(SKIP_1) | instid1(VALU_DEP_2)
	v_add_f32_e32 v23, v23, v25
	v_cvt_i32_f32_e32 v25, v28
	v_exp_f32_e32 v23, v23
	s_delay_alu instid0(TRANS32_DEP_1) | instskip(NEXT) | instid1(VALU_DEP_1)
	v_ldexp_f32 v23, v23, v25
	v_cndmask_b32_e64 v23, 0, v23, s0
	v_cmp_ngt_f32_e64 s0, 0xc2b17218, v19
	s_wait_alu 0xf1ff
	v_cndmask_b32_e64 v19, 0x7f800000, v24, s1
	v_cmp_lt_f32_e64 s1, |v18|, 1.0
	s_delay_alu instid0(VALU_DEP_3) | instskip(NEXT) | instid1(VALU_DEP_3)
	v_cndmask_b32_e64 v20, 0x7f800000, v23, s0
	v_sub_f32_e32 v19, 1.0, v19
	v_cmp_lt_f32_e64 s0, |v17|, 1.0
	s_delay_alu instid0(VALU_DEP_3) | instskip(SKIP_1) | instid1(VALU_DEP_3)
	v_sub_f32_e32 v20, 1.0, v20
	s_wait_alu 0xf1ff
	v_cndmask_b32_e64 v19, v19, v21, s1
	s_delay_alu instid0(VALU_DEP_1) | instskip(NEXT) | instid1(VALU_DEP_1)
	v_bfi_b32 v18, 0x7fffffff, v19, v18
	v_add_f32_e32 v18, 1.0, v18
	s_delay_alu instid0(VALU_DEP_1) | instskip(SKIP_1) | instid1(VALU_DEP_2)
	v_mul_f32_e32 v1, v1, v18
	v_fma_f32 v22, |v17|, v22, |v17|
	v_cmp_o_f32_e64 s1, v1, v1
	s_delay_alu instid0(VALU_DEP_2) | instskip(NEXT) | instid1(VALU_DEP_1)
	v_cndmask_b32_e64 v20, v20, v22, s0
	v_bfi_b32 v17, 0x7fffffff, v20, v17
	s_delay_alu instid0(VALU_DEP_1) | instskip(NEXT) | instid1(VALU_DEP_1)
	v_add_f32_e32 v17, 1.0, v17
	v_mul_f32_e32 v15, v15, v17
	v_lshrrev_b32_e32 v17, 16, v1
	s_delay_alu instid0(VALU_DEP_2) | instskip(NEXT) | instid1(VALU_DEP_2)
	v_lshrrev_b32_e32 v18, 16, v15
	v_and_b32_e32 v17, 1, v17
	v_cmp_o_f32_e64 s0, v15, v15
	s_delay_alu instid0(VALU_DEP_3) | instskip(NEXT) | instid1(VALU_DEP_3)
	v_and_b32_e32 v18, 1, v18
	v_add3_u32 v17, v1, v17, 0x7fff
	s_delay_alu instid0(VALU_DEP_2) | instskip(NEXT) | instid1(VALU_DEP_2)
	v_add3_u32 v18, v15, v18, 0x7fff
	v_and_b32_e32 v17, 0xffff0000, v17
	s_delay_alu instid0(VALU_DEP_2) | instskip(SKIP_1) | instid1(VALU_DEP_2)
	v_and_b32_e32 v18, 0xffff0000, v18
	s_wait_alu 0xf1ff
	v_cndmask_b32_e64 v1, 0x7fc00000, v17, s1
	s_delay_alu instid0(VALU_DEP_2) | instskip(NEXT) | instid1(VALU_DEP_1)
	v_cndmask_b32_e64 v15, 0x7fc00000, v18, s0
	v_dual_mul_f32 v1, v1, v14 :: v_dual_mul_f32 v14, v15, v16
	s_delay_alu instid0(VALU_DEP_1) | instskip(SKIP_1) | instid1(VALU_DEP_3)
	v_lshrrev_b32_e32 v15, 16, v1
	v_cmp_o_f32_e64 s1, v1, v1
	v_lshrrev_b32_e32 v16, 16, v14
	s_delay_alu instid0(VALU_DEP_3) | instskip(SKIP_1) | instid1(VALU_DEP_3)
	v_and_b32_e32 v15, 1, v15
	v_cmp_o_f32_e64 s0, v14, v14
	v_and_b32_e32 v16, 1, v16
	s_delay_alu instid0(VALU_DEP_3) | instskip(NEXT) | instid1(VALU_DEP_2)
	v_add3_u32 v15, v1, v15, 0x7fff
	v_add3_u32 v16, v14, v16, 0x7fff
	s_delay_alu instid0(VALU_DEP_2) | instskip(NEXT) | instid1(VALU_DEP_2)
	v_lshrrev_b32_e32 v15, 16, v15
	v_lshrrev_b32_e32 v16, 16, v16
	s_wait_alu 0xf1ff
	s_delay_alu instid0(VALU_DEP_2) | instskip(NEXT) | instid1(VALU_DEP_2)
	v_cndmask_b32_e64 v1, 0x7fc0, v15, s1
	v_cndmask_b32_e64 v14, 0x7fc0, v16, s0
	s_delay_alu instid0(VALU_DEP_1)
	v_perm_b32 v1, v14, v1, 0x5040100
	global_store_b32 v[6:7], v1, off
	v_add_co_u32 v6, s0, v6, 4
	s_wait_alu 0xf1ff
	v_add_co_ci_u32_e64 v7, null, 0, v7, s0
	s_and_not1_b32 exec_lo, exec_lo, s11
	s_cbranch_execnz .LBB8_3
; %bb.4:
	s_or_b32 exec_lo, exec_lo, s11
	v_cmp_ne_u64_e32 vcc_lo, v[2:3], v[4:5]
	v_add_co_u32 v0, s0, v4, v0
	s_wait_alu 0xf1ff
	v_add_co_ci_u32_e64 v1, null, 0, v5, s0
	s_or_not1_b32 s0, vcc_lo, exec_lo
.LBB8_5:
	s_or_b32 exec_lo, exec_lo, s15
	s_wait_alu 0xfffe
	s_and_b32 exec_lo, exec_lo, s0
	s_cbranch_execz .LBB8_12
; %bb.6:
	v_lshlrev_b64_e32 v[2:3], 1, v[0:1]
	s_lshl_b64 s[0:1], s[2:3], 1
	s_lshl_b64 s[10:11], s[12:13], 1
	s_wait_alu 0xfffe
	s_add_nc_u64 s[6:7], s[8:9], s[0:1]
	s_add_nc_u64 s[4:5], s[4:5], s[10:11]
	s_mov_b32 s1, 0
	s_lshl_b32 s10, s14, 1
	s_mov_b32 s11, 0x378e98ab
	s_mov_b32 s12, 0xba1345e1
	s_branch .LBB8_8
.LBB8_7:                                ;   in Loop: Header=BB8_8 Depth=1
	s_wait_alu 0xfffe
	s_or_b32 exec_lo, exec_lo, s0
	s_delay_alu instid0(VALU_DEP_1) | instskip(SKIP_2) | instid1(VALU_DEP_2)
	v_bfi_b32 v6, 0x7fffffff, v7, v6
	s_wait_loadcnt 0x0
	v_dual_mul_f32 v5, 0.5, v5 :: v_dual_lshlrev_b32 v4, 16, v4
	v_add_f32_e32 v6, 1.0, v6
	s_delay_alu instid0(VALU_DEP_1) | instskip(NEXT) | instid1(VALU_DEP_1)
	v_mul_f32_e32 v5, v5, v6
	v_bfe_u32 v6, v5, 16, 1
	v_cmp_o_f32_e32 vcc_lo, v5, v5
	s_delay_alu instid0(VALU_DEP_2) | instskip(NEXT) | instid1(VALU_DEP_1)
	v_add3_u32 v6, v5, v6, 0x7fff
	v_and_b32_e32 v6, 0xffff0000, v6
	s_wait_alu 0xfffd
	s_delay_alu instid0(VALU_DEP_1) | instskip(SKIP_3) | instid1(VALU_DEP_3)
	v_cndmask_b32_e32 v5, 0x7fc00000, v6, vcc_lo
	v_add_co_u32 v0, vcc_lo, v0, s14
	s_wait_alu 0xfffd
	v_add_co_ci_u32_e64 v1, null, 0, v1, vcc_lo
	v_mul_f32_e32 v6, v5, v4
	s_delay_alu instid0(VALU_DEP_1) | instskip(SKIP_1) | instid1(VALU_DEP_2)
	v_bfe_u32 v4, v6, 16, 1
	v_cmp_o_f32_e64 s0, v6, v6
	v_add3_u32 v4, v6, v4, 0x7fff
	s_delay_alu instid0(VALU_DEP_1)
	v_lshrrev_b32_e32 v7, 16, v4
	v_add_co_u32 v4, vcc_lo, s4, v2
	s_wait_alu 0xfffd
	v_add_co_ci_u32_e64 v5, null, s5, v3, vcc_lo
	v_cmp_le_i64_e32 vcc_lo, s[2:3], v[0:1]
	s_wait_alu 0xf1ff
	v_cndmask_b32_e64 v6, 0x7fc0, v7, s0
	v_add_co_u32 v2, s0, v2, s10
	s_wait_alu 0xf1ff
	v_add_co_ci_u32_e64 v3, null, 0, v3, s0
	s_or_b32 s1, vcc_lo, s1
	global_store_b16 v[4:5], v6, off
	s_wait_alu 0xfffe
	s_and_not1_b32 exec_lo, exec_lo, s1
	s_cbranch_execz .LBB8_12
.LBB8_8:                                ; =>This Inner Loop Header: Depth=1
	v_add_co_u32 v4, vcc_lo, s8, v2
	s_wait_alu 0xfffd
	v_add_co_ci_u32_e64 v5, null, s9, v3, vcc_lo
                                        ; implicit-def: $vgpr7
	global_load_u16 v6, v[4:5], off
	s_wait_alu 0xfffe
	v_add_co_u32 v4, vcc_lo, s6, v2
	s_wait_alu 0xfffd
	v_add_co_ci_u32_e64 v5, null, s7, v3, vcc_lo
	global_load_u16 v4, v[4:5], off
	s_wait_loadcnt 0x1
	v_lshlrev_b32_e32 v5, 16, v6
	s_delay_alu instid0(VALU_DEP_1) | instskip(NEXT) | instid1(VALU_DEP_1)
	v_mul_f32_e32 v6, 0x3f3504f3, v5
	v_cmp_nlt_f32_e64 s0, |v6|, 1.0
	s_and_saveexec_b32 s13, s0
	s_wait_alu 0xfffe
	s_xor_b32 s0, exec_lo, s13
	s_cbranch_execz .LBB8_10
; %bb.9:                                ;   in Loop: Header=BB8_8 Depth=1
	v_fma_f32 v7, |v6|, s11, 0xb9c68948
	s_delay_alu instid0(VALU_DEP_1) | instskip(NEXT) | instid1(VALU_DEP_1)
	v_fma_f32 v7, |v6|, v7, 0x3b7cd369
	v_fma_f32 v7, |v6|, v7, 0xbcc618b2
	s_delay_alu instid0(VALU_DEP_1) | instskip(NEXT) | instid1(VALU_DEP_1)
	v_fma_f32 v7, |v6|, v7, 0x3dda74e4
	;; [unrolled: 3-line block ×3, first 2 shown]
	v_fma_f32 v7, |v6|, v7, |v6|
	s_delay_alu instid0(VALU_DEP_1) | instskip(SKIP_1) | instid1(VALU_DEP_2)
	v_mul_f32_e32 v8, 0xbfb8aa3b, v7
	v_cmp_nlt_f32_e32 vcc_lo, 0x42ce8ed0, v7
	v_fma_f32 v9, 0xbfb8aa3b, v7, -v8
	v_rndne_f32_e32 v10, v8
	s_delay_alu instid0(VALU_DEP_1) | instskip(NEXT) | instid1(VALU_DEP_1)
	v_dual_fmac_f32 v9, 0xb2a5705f, v7 :: v_dual_sub_f32 v8, v8, v10
	v_add_f32_e32 v8, v8, v9
	v_cvt_i32_f32_e32 v9, v10
	s_delay_alu instid0(VALU_DEP_2) | instskip(NEXT) | instid1(TRANS32_DEP_1)
	v_exp_f32_e32 v8, v8
	v_ldexp_f32 v8, v8, v9
	s_wait_alu 0xfffd
	s_delay_alu instid0(VALU_DEP_1) | instskip(SKIP_2) | instid1(VALU_DEP_2)
	v_cndmask_b32_e32 v8, 0, v8, vcc_lo
	v_cmp_ngt_f32_e32 vcc_lo, 0xc2b17218, v7
	s_wait_alu 0xfffd
	v_cndmask_b32_e32 v7, 0x7f800000, v8, vcc_lo
	s_delay_alu instid0(VALU_DEP_1)
	v_sub_f32_e32 v7, 1.0, v7
.LBB8_10:                               ;   in Loop: Header=BB8_8 Depth=1
	s_wait_alu 0xfffe
	s_and_not1_saveexec_b32 s0, s0
	s_cbranch_execz .LBB8_7
; %bb.11:                               ;   in Loop: Header=BB8_8 Depth=1
	v_mul_f32_e32 v7, v6, v6
	s_delay_alu instid0(VALU_DEP_1) | instskip(NEXT) | instid1(VALU_DEP_1)
	v_fmaak_f32 v8, s12, v7, 0x3ba10414
	v_fmaak_f32 v8, v7, v8, 0xbcdac9b8
	s_delay_alu instid0(VALU_DEP_1) | instskip(NEXT) | instid1(VALU_DEP_1)
	v_fmaak_f32 v8, v7, v8, 0x3de703be
	v_fmaak_f32 v8, v7, v8, 0xbec09330
	s_delay_alu instid0(VALU_DEP_1) | instskip(NEXT) | instid1(VALU_DEP_1)
	v_fmaak_f32 v7, v7, v8, 0x3e0375d0
	v_fma_f32 v7, |v6|, v7, |v6|
	s_branch .LBB8_7
.LBB8_12:
	s_endpgm
	.section	.rodata,"a",@progbits
	.p2align	6, 0x0
	.amdhsa_kernel _ZN4vllm18act_and_mul_kernelIN3c108BFloat16ETnPFT_RKS3_EXadL_ZNS_11gelu_kernelIS2_EES3_S5_EELb1EEEvPS3_PS4_i
		.amdhsa_group_segment_fixed_size 0
		.amdhsa_private_segment_fixed_size 0
		.amdhsa_kernarg_size 280
		.amdhsa_user_sgpr_count 2
		.amdhsa_user_sgpr_dispatch_ptr 0
		.amdhsa_user_sgpr_queue_ptr 0
		.amdhsa_user_sgpr_kernarg_segment_ptr 1
		.amdhsa_user_sgpr_dispatch_id 0
		.amdhsa_user_sgpr_private_segment_size 0
		.amdhsa_wavefront_size32 1
		.amdhsa_uses_dynamic_stack 0
		.amdhsa_enable_private_segment 0
		.amdhsa_system_sgpr_workgroup_id_x 1
		.amdhsa_system_sgpr_workgroup_id_y 0
		.amdhsa_system_sgpr_workgroup_id_z 0
		.amdhsa_system_sgpr_workgroup_info 0
		.amdhsa_system_vgpr_workitem_id 0
		.amdhsa_next_free_vgpr 29
		.amdhsa_next_free_sgpr 18
		.amdhsa_reserve_vcc 1
		.amdhsa_float_round_mode_32 0
		.amdhsa_float_round_mode_16_64 0
		.amdhsa_float_denorm_mode_32 3
		.amdhsa_float_denorm_mode_16_64 3
		.amdhsa_fp16_overflow 0
		.amdhsa_workgroup_processor_mode 1
		.amdhsa_memory_ordered 1
		.amdhsa_forward_progress 1
		.amdhsa_inst_pref_size 17
		.amdhsa_round_robin_scheduling 0
		.amdhsa_exception_fp_ieee_invalid_op 0
		.amdhsa_exception_fp_denorm_src 0
		.amdhsa_exception_fp_ieee_div_zero 0
		.amdhsa_exception_fp_ieee_overflow 0
		.amdhsa_exception_fp_ieee_underflow 0
		.amdhsa_exception_fp_ieee_inexact 0
		.amdhsa_exception_int_div_zero 0
	.end_amdhsa_kernel
	.section	.text._ZN4vllm18act_and_mul_kernelIN3c108BFloat16ETnPFT_RKS3_EXadL_ZNS_11gelu_kernelIS2_EES3_S5_EELb1EEEvPS3_PS4_i,"axG",@progbits,_ZN4vllm18act_and_mul_kernelIN3c108BFloat16ETnPFT_RKS3_EXadL_ZNS_11gelu_kernelIS2_EES3_S5_EELb1EEEvPS3_PS4_i,comdat
.Lfunc_end8:
	.size	_ZN4vllm18act_and_mul_kernelIN3c108BFloat16ETnPFT_RKS3_EXadL_ZNS_11gelu_kernelIS2_EES3_S5_EELb1EEEvPS3_PS4_i, .Lfunc_end8-_ZN4vllm18act_and_mul_kernelIN3c108BFloat16ETnPFT_RKS3_EXadL_ZNS_11gelu_kernelIS2_EES3_S5_EELb1EEEvPS3_PS4_i
                                        ; -- End function
	.set _ZN4vllm18act_and_mul_kernelIN3c108BFloat16ETnPFT_RKS3_EXadL_ZNS_11gelu_kernelIS2_EES3_S5_EELb1EEEvPS3_PS4_i.num_vgpr, 29
	.set _ZN4vllm18act_and_mul_kernelIN3c108BFloat16ETnPFT_RKS3_EXadL_ZNS_11gelu_kernelIS2_EES3_S5_EELb1EEEvPS3_PS4_i.num_agpr, 0
	.set _ZN4vllm18act_and_mul_kernelIN3c108BFloat16ETnPFT_RKS3_EXadL_ZNS_11gelu_kernelIS2_EES3_S5_EELb1EEEvPS3_PS4_i.numbered_sgpr, 18
	.set _ZN4vllm18act_and_mul_kernelIN3c108BFloat16ETnPFT_RKS3_EXadL_ZNS_11gelu_kernelIS2_EES3_S5_EELb1EEEvPS3_PS4_i.num_named_barrier, 0
	.set _ZN4vllm18act_and_mul_kernelIN3c108BFloat16ETnPFT_RKS3_EXadL_ZNS_11gelu_kernelIS2_EES3_S5_EELb1EEEvPS3_PS4_i.private_seg_size, 0
	.set _ZN4vllm18act_and_mul_kernelIN3c108BFloat16ETnPFT_RKS3_EXadL_ZNS_11gelu_kernelIS2_EES3_S5_EELb1EEEvPS3_PS4_i.uses_vcc, 1
	.set _ZN4vllm18act_and_mul_kernelIN3c108BFloat16ETnPFT_RKS3_EXadL_ZNS_11gelu_kernelIS2_EES3_S5_EELb1EEEvPS3_PS4_i.uses_flat_scratch, 0
	.set _ZN4vllm18act_and_mul_kernelIN3c108BFloat16ETnPFT_RKS3_EXadL_ZNS_11gelu_kernelIS2_EES3_S5_EELb1EEEvPS3_PS4_i.has_dyn_sized_stack, 0
	.set _ZN4vllm18act_and_mul_kernelIN3c108BFloat16ETnPFT_RKS3_EXadL_ZNS_11gelu_kernelIS2_EES3_S5_EELb1EEEvPS3_PS4_i.has_recursion, 0
	.set _ZN4vllm18act_and_mul_kernelIN3c108BFloat16ETnPFT_RKS3_EXadL_ZNS_11gelu_kernelIS2_EES3_S5_EELb1EEEvPS3_PS4_i.has_indirect_call, 0
	.section	.AMDGPU.csdata,"",@progbits
; Kernel info:
; codeLenInByte = 2152
; TotalNumSgprs: 20
; NumVgprs: 29
; ScratchSize: 0
; MemoryBound: 0
; FloatMode: 240
; IeeeMode: 1
; LDSByteSize: 0 bytes/workgroup (compile time only)
; SGPRBlocks: 0
; VGPRBlocks: 3
; NumSGPRsForWavesPerEU: 20
; NumVGPRsForWavesPerEU: 29
; Occupancy: 16
; WaveLimiterHint : 0
; COMPUTE_PGM_RSRC2:SCRATCH_EN: 0
; COMPUTE_PGM_RSRC2:USER_SGPR: 2
; COMPUTE_PGM_RSRC2:TRAP_HANDLER: 0
; COMPUTE_PGM_RSRC2:TGID_X_EN: 1
; COMPUTE_PGM_RSRC2:TGID_Y_EN: 0
; COMPUTE_PGM_RSRC2:TGID_Z_EN: 0
; COMPUTE_PGM_RSRC2:TIDIG_COMP_CNT: 0
	.section	.text._ZN4vllm18act_and_mul_kernelIfTnPFT_RKS1_EXadL_ZNS_16gelu_tanh_kernelIfEES1_S3_EELb1EEEvPS1_PS2_i,"axG",@progbits,_ZN4vllm18act_and_mul_kernelIfTnPFT_RKS1_EXadL_ZNS_16gelu_tanh_kernelIfEES1_S3_EELb1EEEvPS1_PS2_i,comdat
	.protected	_ZN4vllm18act_and_mul_kernelIfTnPFT_RKS1_EXadL_ZNS_16gelu_tanh_kernelIfEES1_S3_EELb1EEEvPS1_PS2_i ; -- Begin function _ZN4vllm18act_and_mul_kernelIfTnPFT_RKS1_EXadL_ZNS_16gelu_tanh_kernelIfEES1_S3_EELb1EEEvPS1_PS2_i
	.globl	_ZN4vllm18act_and_mul_kernelIfTnPFT_RKS1_EXadL_ZNS_16gelu_tanh_kernelIfEES1_S3_EELb1EEEvPS1_PS2_i
	.p2align	8
	.type	_ZN4vllm18act_and_mul_kernelIfTnPFT_RKS1_EXadL_ZNS_16gelu_tanh_kernelIfEES1_S3_EELb1EEEvPS1_PS2_i,@function
_ZN4vllm18act_and_mul_kernelIfTnPFT_RKS1_EXadL_ZNS_16gelu_tanh_kernelIfEES1_S3_EELb1EEEvPS1_PS2_i: ; @_ZN4vllm18act_and_mul_kernelIfTnPFT_RKS1_EXadL_ZNS_16gelu_tanh_kernelIfEES1_S3_EELb1EEEvPS1_PS2_i
; %bb.0:
	s_load_b32 s2, s[0:1], 0x10
	s_mov_b32 s3, exec_lo
	s_wait_kmcnt 0x0
	v_cmpx_gt_i32_e64 s2, v0
	s_cbranch_execz .LBB9_7
; %bb.1:
	s_clause 0x1
	s_load_b128 s[8:11], s[0:1], 0x0
	s_load_b32 s14, s[0:1], 0x24
	s_mov_b32 s4, ttmp9
	s_ashr_i32 s3, s2, 31
	s_mov_b32 s5, 0
	v_dual_mov_b32 v1, 0 :: v_dual_lshlrev_b32 v2, 2, v0
	s_wait_alu 0xfffe
	s_mul_u64 s[0:1], s[4:5], s[2:3]
	s_lshl_b64 s[12:13], s[2:3], 2
	s_lshl_b64 s[6:7], s[0:1], 3
	;; [unrolled: 1-line block ×3, first 2 shown]
	v_mov_b32_e32 v3, v1
	s_wait_kmcnt 0x0
	s_add_nc_u64 s[6:7], s[10:11], s[6:7]
	s_add_nc_u64 s[8:9], s[8:9], s[0:1]
	s_and_b32 s1, s14, 0xffff
	s_add_nc_u64 s[10:11], s[6:7], s[12:13]
	s_lshl_b32 s4, s1, 2
	s_mov_b32 s12, 0xbbbac73d
	s_branch .LBB9_3
.LBB9_2:                                ;   in Loop: Header=BB9_3 Depth=1
	s_wait_alu 0xfffe
	s_or_b32 exec_lo, exec_lo, s0
	s_delay_alu instid0(VALU_DEP_1)
	v_bfi_b32 v6, 0x7fffffff, v7, v6
	v_mul_f32_e32 v5, 0.5, v5
	v_add_co_u32 v0, vcc_lo, v0, s1
	s_wait_alu 0xfffd
	v_add_co_ci_u32_e64 v1, null, 0, v1, vcc_lo
	v_add_f32_e32 v6, 1.0, v6
	s_delay_alu instid0(VALU_DEP_1)
	v_mul_f32_e32 v7, v5, v6
	v_add_co_u32 v5, vcc_lo, s8, v2
	s_wait_alu 0xfffd
	v_add_co_ci_u32_e64 v6, null, s9, v3, vcc_lo
	v_cmp_le_i64_e32 vcc_lo, s[2:3], v[0:1]
	v_add_co_u32 v2, s0, v2, s4
	s_wait_loadcnt 0x0
	v_mul_f32_e32 v4, v4, v7
	s_wait_alu 0xf1ff
	v_add_co_ci_u32_e64 v3, null, 0, v3, s0
	s_or_b32 s5, vcc_lo, s5
	global_store_b32 v[5:6], v4, off
	s_wait_alu 0xfffe
	s_and_not1_b32 exec_lo, exec_lo, s5
	s_cbranch_execz .LBB9_7
.LBB9_3:                                ; =>This Inner Loop Header: Depth=1
	v_add_co_u32 v4, vcc_lo, s6, v2
	s_wait_alu 0xfffd
	v_add_co_ci_u32_e64 v5, null, s7, v3, vcc_lo
	v_add_co_u32 v6, vcc_lo, s10, v2
	s_wait_alu 0xfffd
	v_add_co_ci_u32_e64 v7, null, s11, v3, vcc_lo
	s_clause 0x1
	global_load_b32 v5, v[4:5], off
	global_load_b32 v4, v[6:7], off
                                        ; implicit-def: $vgpr7
	s_wait_loadcnt 0x1
	v_mul_f32_e32 v6, v5, v5
	s_delay_alu instid0(VALU_DEP_1) | instskip(NEXT) | instid1(VALU_DEP_1)
	v_mul_f32_e32 v6, v5, v6
	v_fmamk_f32 v6, v6, 0x3d372713, v5
	s_delay_alu instid0(VALU_DEP_1) | instskip(NEXT) | instid1(VALU_DEP_1)
	v_mul_f32_e32 v6, 0x3f4c422a, v6
	v_cmp_ngt_f32_e64 s0, 0x3f200000, |v6|
	s_and_saveexec_b32 s13, s0
	s_wait_alu 0xfffe
	s_xor_b32 s0, exec_lo, s13
	s_cbranch_execz .LBB9_5
; %bb.4:                                ;   in Loop: Header=BB9_3 Depth=1
	v_add_f32_e64 v7, |v6|, |v6|
	s_delay_alu instid0(VALU_DEP_1) | instskip(SKIP_1) | instid1(VALU_DEP_2)
	v_mul_f32_e32 v8, 0x3fb8aa3b, v7
	v_cmp_ngt_f32_e32 vcc_lo, 0xc2ce8ed0, v7
	v_rndne_f32_e32 v9, v8
	v_fma_f32 v10, 0x3fb8aa3b, v7, -v8
	s_delay_alu instid0(VALU_DEP_2) | instskip(NEXT) | instid1(VALU_DEP_2)
	v_sub_f32_e32 v8, v8, v9
	v_fmac_f32_e32 v10, 0x32a5705f, v7
	v_cvt_i32_f32_e32 v9, v9
	s_delay_alu instid0(VALU_DEP_2) | instskip(NEXT) | instid1(VALU_DEP_1)
	v_add_f32_e32 v8, v8, v10
	v_exp_f32_e32 v8, v8
	s_delay_alu instid0(TRANS32_DEP_1) | instskip(SKIP_1) | instid1(VALU_DEP_1)
	v_ldexp_f32 v8, v8, v9
	s_wait_alu 0xfffd
	v_cndmask_b32_e32 v8, 0, v8, vcc_lo
	v_cmp_nlt_f32_e32 vcc_lo, 0x42b17218, v7
	s_wait_alu 0xfffd
	s_delay_alu instid0(VALU_DEP_2) | instskip(NEXT) | instid1(VALU_DEP_1)
	v_cndmask_b32_e32 v7, 0x7f800000, v8, vcc_lo
	v_add_f32_e32 v7, 1.0, v7
	s_delay_alu instid0(VALU_DEP_1) | instskip(NEXT) | instid1(TRANS32_DEP_1)
	v_rcp_f32_e32 v7, v7
	v_fma_f32 v7, v7, -2.0, 1.0
.LBB9_5:                                ;   in Loop: Header=BB9_3 Depth=1
	s_wait_alu 0xfffe
	s_and_not1_saveexec_b32 s0, s0
	s_cbranch_execz .LBB9_2
; %bb.6:                                ;   in Loop: Header=BB9_3 Depth=1
	v_mul_f32_e32 v7, v6, v6
	s_delay_alu instid0(VALU_DEP_1) | instskip(NEXT) | instid1(VALU_DEP_1)
	v_fmaak_f32 v8, s12, v7, 0x3ca908c9
	v_fmaak_f32 v8, v7, v8, 0xbd5c1c4e
	s_delay_alu instid0(VALU_DEP_1) | instskip(NEXT) | instid1(VALU_DEP_1)
	v_fmaak_f32 v8, v7, v8, 0x3e088382
	v_fmaak_f32 v8, v7, v8, 0xbeaaaa99
	s_delay_alu instid0(VALU_DEP_1) | instskip(NEXT) | instid1(VALU_DEP_1)
	v_mul_f32_e64 v8, |v6|, v8
	v_fma_f32 v7, v7, v8, |v6|
	s_branch .LBB9_2
.LBB9_7:
	s_endpgm
	.section	.rodata,"a",@progbits
	.p2align	6, 0x0
	.amdhsa_kernel _ZN4vllm18act_and_mul_kernelIfTnPFT_RKS1_EXadL_ZNS_16gelu_tanh_kernelIfEES1_S3_EELb1EEEvPS1_PS2_i
		.amdhsa_group_segment_fixed_size 0
		.amdhsa_private_segment_fixed_size 0
		.amdhsa_kernarg_size 280
		.amdhsa_user_sgpr_count 2
		.amdhsa_user_sgpr_dispatch_ptr 0
		.amdhsa_user_sgpr_queue_ptr 0
		.amdhsa_user_sgpr_kernarg_segment_ptr 1
		.amdhsa_user_sgpr_dispatch_id 0
		.amdhsa_user_sgpr_private_segment_size 0
		.amdhsa_wavefront_size32 1
		.amdhsa_uses_dynamic_stack 0
		.amdhsa_enable_private_segment 0
		.amdhsa_system_sgpr_workgroup_id_x 1
		.amdhsa_system_sgpr_workgroup_id_y 0
		.amdhsa_system_sgpr_workgroup_id_z 0
		.amdhsa_system_sgpr_workgroup_info 0
		.amdhsa_system_vgpr_workitem_id 0
		.amdhsa_next_free_vgpr 11
		.amdhsa_next_free_sgpr 15
		.amdhsa_reserve_vcc 1
		.amdhsa_float_round_mode_32 0
		.amdhsa_float_round_mode_16_64 0
		.amdhsa_float_denorm_mode_32 3
		.amdhsa_float_denorm_mode_16_64 3
		.amdhsa_fp16_overflow 0
		.amdhsa_workgroup_processor_mode 1
		.amdhsa_memory_ordered 1
		.amdhsa_forward_progress 1
		.amdhsa_inst_pref_size 5
		.amdhsa_round_robin_scheduling 0
		.amdhsa_exception_fp_ieee_invalid_op 0
		.amdhsa_exception_fp_denorm_src 0
		.amdhsa_exception_fp_ieee_div_zero 0
		.amdhsa_exception_fp_ieee_overflow 0
		.amdhsa_exception_fp_ieee_underflow 0
		.amdhsa_exception_fp_ieee_inexact 0
		.amdhsa_exception_int_div_zero 0
	.end_amdhsa_kernel
	.section	.text._ZN4vllm18act_and_mul_kernelIfTnPFT_RKS1_EXadL_ZNS_16gelu_tanh_kernelIfEES1_S3_EELb1EEEvPS1_PS2_i,"axG",@progbits,_ZN4vllm18act_and_mul_kernelIfTnPFT_RKS1_EXadL_ZNS_16gelu_tanh_kernelIfEES1_S3_EELb1EEEvPS1_PS2_i,comdat
.Lfunc_end9:
	.size	_ZN4vllm18act_and_mul_kernelIfTnPFT_RKS1_EXadL_ZNS_16gelu_tanh_kernelIfEES1_S3_EELb1EEEvPS1_PS2_i, .Lfunc_end9-_ZN4vllm18act_and_mul_kernelIfTnPFT_RKS1_EXadL_ZNS_16gelu_tanh_kernelIfEES1_S3_EELb1EEEvPS1_PS2_i
                                        ; -- End function
	.set _ZN4vllm18act_and_mul_kernelIfTnPFT_RKS1_EXadL_ZNS_16gelu_tanh_kernelIfEES1_S3_EELb1EEEvPS1_PS2_i.num_vgpr, 11
	.set _ZN4vllm18act_and_mul_kernelIfTnPFT_RKS1_EXadL_ZNS_16gelu_tanh_kernelIfEES1_S3_EELb1EEEvPS1_PS2_i.num_agpr, 0
	.set _ZN4vllm18act_and_mul_kernelIfTnPFT_RKS1_EXadL_ZNS_16gelu_tanh_kernelIfEES1_S3_EELb1EEEvPS1_PS2_i.numbered_sgpr, 15
	.set _ZN4vllm18act_and_mul_kernelIfTnPFT_RKS1_EXadL_ZNS_16gelu_tanh_kernelIfEES1_S3_EELb1EEEvPS1_PS2_i.num_named_barrier, 0
	.set _ZN4vllm18act_and_mul_kernelIfTnPFT_RKS1_EXadL_ZNS_16gelu_tanh_kernelIfEES1_S3_EELb1EEEvPS1_PS2_i.private_seg_size, 0
	.set _ZN4vllm18act_and_mul_kernelIfTnPFT_RKS1_EXadL_ZNS_16gelu_tanh_kernelIfEES1_S3_EELb1EEEvPS1_PS2_i.uses_vcc, 1
	.set _ZN4vllm18act_and_mul_kernelIfTnPFT_RKS1_EXadL_ZNS_16gelu_tanh_kernelIfEES1_S3_EELb1EEEvPS1_PS2_i.uses_flat_scratch, 0
	.set _ZN4vllm18act_and_mul_kernelIfTnPFT_RKS1_EXadL_ZNS_16gelu_tanh_kernelIfEES1_S3_EELb1EEEvPS1_PS2_i.has_dyn_sized_stack, 0
	.set _ZN4vllm18act_and_mul_kernelIfTnPFT_RKS1_EXadL_ZNS_16gelu_tanh_kernelIfEES1_S3_EELb1EEEvPS1_PS2_i.has_recursion, 0
	.set _ZN4vllm18act_and_mul_kernelIfTnPFT_RKS1_EXadL_ZNS_16gelu_tanh_kernelIfEES1_S3_EELb1EEEvPS1_PS2_i.has_indirect_call, 0
	.section	.AMDGPU.csdata,"",@progbits
; Kernel info:
; codeLenInByte = 628
; TotalNumSgprs: 17
; NumVgprs: 11
; ScratchSize: 0
; MemoryBound: 0
; FloatMode: 240
; IeeeMode: 1
; LDSByteSize: 0 bytes/workgroup (compile time only)
; SGPRBlocks: 0
; VGPRBlocks: 1
; NumSGPRsForWavesPerEU: 17
; NumVGPRsForWavesPerEU: 11
; Occupancy: 16
; WaveLimiterHint : 0
; COMPUTE_PGM_RSRC2:SCRATCH_EN: 0
; COMPUTE_PGM_RSRC2:USER_SGPR: 2
; COMPUTE_PGM_RSRC2:TRAP_HANDLER: 0
; COMPUTE_PGM_RSRC2:TGID_X_EN: 1
; COMPUTE_PGM_RSRC2:TGID_Y_EN: 0
; COMPUTE_PGM_RSRC2:TGID_Z_EN: 0
; COMPUTE_PGM_RSRC2:TIDIG_COMP_CNT: 0
	.section	.text._ZN4vllm18act_and_mul_kernelIN3c104HalfETnPFT_RKS3_EXadL_ZNS_16gelu_tanh_kernelIS2_EES3_S5_EELb1EEEvPS3_PS4_i,"axG",@progbits,_ZN4vllm18act_and_mul_kernelIN3c104HalfETnPFT_RKS3_EXadL_ZNS_16gelu_tanh_kernelIS2_EES3_S5_EELb1EEEvPS3_PS4_i,comdat
	.protected	_ZN4vllm18act_and_mul_kernelIN3c104HalfETnPFT_RKS3_EXadL_ZNS_16gelu_tanh_kernelIS2_EES3_S5_EELb1EEEvPS3_PS4_i ; -- Begin function _ZN4vllm18act_and_mul_kernelIN3c104HalfETnPFT_RKS3_EXadL_ZNS_16gelu_tanh_kernelIS2_EES3_S5_EELb1EEEvPS3_PS4_i
	.globl	_ZN4vllm18act_and_mul_kernelIN3c104HalfETnPFT_RKS3_EXadL_ZNS_16gelu_tanh_kernelIS2_EES3_S5_EELb1EEEvPS3_PS4_i
	.p2align	8
	.type	_ZN4vllm18act_and_mul_kernelIN3c104HalfETnPFT_RKS3_EXadL_ZNS_16gelu_tanh_kernelIS2_EES3_S5_EELb1EEEvPS3_PS4_i,@function
_ZN4vllm18act_and_mul_kernelIN3c104HalfETnPFT_RKS3_EXadL_ZNS_16gelu_tanh_kernelIS2_EES3_S5_EELb1EEEvPS3_PS4_i: ; @_ZN4vllm18act_and_mul_kernelIN3c104HalfETnPFT_RKS3_EXadL_ZNS_16gelu_tanh_kernelIS2_EES3_S5_EELb1EEEvPS3_PS4_i
; %bb.0:
	s_load_b32 s2, s[0:1], 0x10
	s_mov_b32 s3, exec_lo
	s_wait_kmcnt 0x0
	v_cmpx_gt_i32_e64 s2, v0
	s_cbranch_execz .LBB10_7
; %bb.1:
	s_clause 0x1
	s_load_b128 s[8:11], s[0:1], 0x0
	s_load_b32 s0, s[0:1], 0x24
	s_mov_b32 s4, ttmp9
	s_ashr_i32 s3, s2, 31
	s_mov_b32 s5, 0
	v_dual_mov_b32 v1, 0 :: v_dual_lshlrev_b32 v2, 1, v0
	s_wait_alu 0xfffe
	s_mul_u64 s[6:7], s[4:5], s[2:3]
	s_lshl_b64 s[12:13], s[2:3], 1
	s_lshl_b64 s[14:15], s[6:7], 2
	v_mov_b32_e32 v3, v1
	s_lshl_b64 s[16:17], s[6:7], 1
	s_mov_b32 s1, 0x3d372713
	s_wait_kmcnt 0x0
	s_add_nc_u64 s[6:7], s[10:11], s[14:15]
	s_and_b32 s4, s0, 0xffff
	s_add_nc_u64 s[8:9], s[8:9], s[16:17]
	s_add_nc_u64 s[10:11], s[6:7], s[12:13]
	s_lshl_b32 s12, s4, 1
	s_mov_b32 s13, 0xbbbac73d
	s_branch .LBB10_3
.LBB10_2:                               ;   in Loop: Header=BB10_3 Depth=1
	s_wait_alu 0xfffe
	s_or_b32 exec_lo, exec_lo, s0
	s_delay_alu instid0(VALU_DEP_1)
	v_bfi_b32 v6, 0x7fffffff, v7, v6
	v_mul_f32_e32 v5, 0.5, v5
	v_add_co_u32 v0, vcc_lo, v0, s4
	s_wait_alu 0xfffd
	v_add_co_ci_u32_e64 v1, null, 0, v1, vcc_lo
	v_add_f32_e32 v6, 1.0, v6
	s_delay_alu instid0(VALU_DEP_1)
	v_fma_mixlo_f16 v7, v5, v6, 0
	v_add_co_u32 v5, vcc_lo, s8, v2
	s_wait_alu 0xfffd
	v_add_co_ci_u32_e64 v6, null, s9, v3, vcc_lo
	v_cmp_le_i64_e32 vcc_lo, s[2:3], v[0:1]
	v_add_co_u32 v2, s0, v2, s12
	s_wait_loadcnt 0x0
	v_mul_f16_e32 v4, v4, v7
	s_wait_alu 0xf1ff
	v_add_co_ci_u32_e64 v3, null, 0, v3, s0
	s_or_b32 s5, vcc_lo, s5
	global_store_b16 v[5:6], v4, off
	s_wait_alu 0xfffe
	s_and_not1_b32 exec_lo, exec_lo, s5
	s_cbranch_execz .LBB10_7
.LBB10_3:                               ; =>This Inner Loop Header: Depth=1
	v_add_co_u32 v4, vcc_lo, s6, v2
	s_wait_alu 0xfffd
	v_add_co_ci_u32_e64 v5, null, s7, v3, vcc_lo
	global_load_u16 v6, v[4:5], off
	v_add_co_u32 v4, vcc_lo, s10, v2
	s_wait_alu 0xfffd
	v_add_co_ci_u32_e64 v5, null, s11, v3, vcc_lo
	global_load_u16 v4, v[4:5], off
	s_wait_loadcnt 0x1
	v_cvt_f32_f16_e32 v5, v6
	s_delay_alu instid0(VALU_DEP_1) | instskip(NEXT) | instid1(VALU_DEP_1)
	v_mul_f32_e32 v7, v5, v5
	v_mul_f32_e32 v7, v7, v5
	s_delay_alu instid0(VALU_DEP_1) | instskip(NEXT) | instid1(VALU_DEP_1)
	v_fma_mix_f32 v6, v7, s1, v6 op_sel_hi:[0,0,1]
                                        ; implicit-def: $vgpr7
	v_mul_f32_e32 v6, 0x3f4c422a, v6
	s_delay_alu instid0(VALU_DEP_1) | instskip(SKIP_1) | instid1(SALU_CYCLE_1)
	v_cmp_ngt_f32_e64 s0, 0x3f200000, |v6|
	s_and_saveexec_b32 s14, s0
	s_xor_b32 s0, exec_lo, s14
	s_cbranch_execz .LBB10_5
; %bb.4:                                ;   in Loop: Header=BB10_3 Depth=1
	v_add_f32_e64 v7, |v6|, |v6|
	s_delay_alu instid0(VALU_DEP_1) | instskip(SKIP_1) | instid1(VALU_DEP_2)
	v_mul_f32_e32 v8, 0x3fb8aa3b, v7
	v_cmp_ngt_f32_e32 vcc_lo, 0xc2ce8ed0, v7
	v_rndne_f32_e32 v9, v8
	v_fma_f32 v10, 0x3fb8aa3b, v7, -v8
	s_delay_alu instid0(VALU_DEP_2) | instskip(NEXT) | instid1(VALU_DEP_2)
	v_sub_f32_e32 v8, v8, v9
	v_fmac_f32_e32 v10, 0x32a5705f, v7
	v_cvt_i32_f32_e32 v9, v9
	s_delay_alu instid0(VALU_DEP_2) | instskip(NEXT) | instid1(VALU_DEP_1)
	v_add_f32_e32 v8, v8, v10
	v_exp_f32_e32 v8, v8
	s_delay_alu instid0(TRANS32_DEP_1) | instskip(SKIP_1) | instid1(VALU_DEP_1)
	v_ldexp_f32 v8, v8, v9
	s_wait_alu 0xfffd
	v_cndmask_b32_e32 v8, 0, v8, vcc_lo
	v_cmp_nlt_f32_e32 vcc_lo, 0x42b17218, v7
	s_wait_alu 0xfffd
	s_delay_alu instid0(VALU_DEP_2) | instskip(NEXT) | instid1(VALU_DEP_1)
	v_cndmask_b32_e32 v7, 0x7f800000, v8, vcc_lo
	v_add_f32_e32 v7, 1.0, v7
	s_delay_alu instid0(VALU_DEP_1) | instskip(NEXT) | instid1(TRANS32_DEP_1)
	v_rcp_f32_e32 v7, v7
	v_fma_f32 v7, v7, -2.0, 1.0
.LBB10_5:                               ;   in Loop: Header=BB10_3 Depth=1
	s_wait_alu 0xfffe
	s_and_not1_saveexec_b32 s0, s0
	s_cbranch_execz .LBB10_2
; %bb.6:                                ;   in Loop: Header=BB10_3 Depth=1
	v_mul_f32_e32 v7, v6, v6
	s_delay_alu instid0(VALU_DEP_1) | instskip(NEXT) | instid1(VALU_DEP_1)
	v_fmaak_f32 v8, s13, v7, 0x3ca908c9
	v_fmaak_f32 v8, v7, v8, 0xbd5c1c4e
	s_delay_alu instid0(VALU_DEP_1) | instskip(NEXT) | instid1(VALU_DEP_1)
	v_fmaak_f32 v8, v7, v8, 0x3e088382
	v_fmaak_f32 v8, v7, v8, 0xbeaaaa99
	s_delay_alu instid0(VALU_DEP_1) | instskip(NEXT) | instid1(VALU_DEP_1)
	v_mul_f32_e64 v8, |v6|, v8
	v_fma_f32 v7, v7, v8, |v6|
	s_branch .LBB10_2
.LBB10_7:
	s_endpgm
	.section	.rodata,"a",@progbits
	.p2align	6, 0x0
	.amdhsa_kernel _ZN4vllm18act_and_mul_kernelIN3c104HalfETnPFT_RKS3_EXadL_ZNS_16gelu_tanh_kernelIS2_EES3_S5_EELb1EEEvPS3_PS4_i
		.amdhsa_group_segment_fixed_size 0
		.amdhsa_private_segment_fixed_size 0
		.amdhsa_kernarg_size 280
		.amdhsa_user_sgpr_count 2
		.amdhsa_user_sgpr_dispatch_ptr 0
		.amdhsa_user_sgpr_queue_ptr 0
		.amdhsa_user_sgpr_kernarg_segment_ptr 1
		.amdhsa_user_sgpr_dispatch_id 0
		.amdhsa_user_sgpr_private_segment_size 0
		.amdhsa_wavefront_size32 1
		.amdhsa_uses_dynamic_stack 0
		.amdhsa_enable_private_segment 0
		.amdhsa_system_sgpr_workgroup_id_x 1
		.amdhsa_system_sgpr_workgroup_id_y 0
		.amdhsa_system_sgpr_workgroup_id_z 0
		.amdhsa_system_sgpr_workgroup_info 0
		.amdhsa_system_vgpr_workitem_id 0
		.amdhsa_next_free_vgpr 11
		.amdhsa_next_free_sgpr 18
		.amdhsa_reserve_vcc 1
		.amdhsa_float_round_mode_32 0
		.amdhsa_float_round_mode_16_64 0
		.amdhsa_float_denorm_mode_32 3
		.amdhsa_float_denorm_mode_16_64 3
		.amdhsa_fp16_overflow 0
		.amdhsa_workgroup_processor_mode 1
		.amdhsa_memory_ordered 1
		.amdhsa_forward_progress 1
		.amdhsa_inst_pref_size 5
		.amdhsa_round_robin_scheduling 0
		.amdhsa_exception_fp_ieee_invalid_op 0
		.amdhsa_exception_fp_denorm_src 0
		.amdhsa_exception_fp_ieee_div_zero 0
		.amdhsa_exception_fp_ieee_overflow 0
		.amdhsa_exception_fp_ieee_underflow 0
		.amdhsa_exception_fp_ieee_inexact 0
		.amdhsa_exception_int_div_zero 0
	.end_amdhsa_kernel
	.section	.text._ZN4vllm18act_and_mul_kernelIN3c104HalfETnPFT_RKS3_EXadL_ZNS_16gelu_tanh_kernelIS2_EES3_S5_EELb1EEEvPS3_PS4_i,"axG",@progbits,_ZN4vllm18act_and_mul_kernelIN3c104HalfETnPFT_RKS3_EXadL_ZNS_16gelu_tanh_kernelIS2_EES3_S5_EELb1EEEvPS3_PS4_i,comdat
.Lfunc_end10:
	.size	_ZN4vllm18act_and_mul_kernelIN3c104HalfETnPFT_RKS3_EXadL_ZNS_16gelu_tanh_kernelIS2_EES3_S5_EELb1EEEvPS3_PS4_i, .Lfunc_end10-_ZN4vllm18act_and_mul_kernelIN3c104HalfETnPFT_RKS3_EXadL_ZNS_16gelu_tanh_kernelIS2_EES3_S5_EELb1EEEvPS3_PS4_i
                                        ; -- End function
	.set _ZN4vllm18act_and_mul_kernelIN3c104HalfETnPFT_RKS3_EXadL_ZNS_16gelu_tanh_kernelIS2_EES3_S5_EELb1EEEvPS3_PS4_i.num_vgpr, 11
	.set _ZN4vllm18act_and_mul_kernelIN3c104HalfETnPFT_RKS3_EXadL_ZNS_16gelu_tanh_kernelIS2_EES3_S5_EELb1EEEvPS3_PS4_i.num_agpr, 0
	.set _ZN4vllm18act_and_mul_kernelIN3c104HalfETnPFT_RKS3_EXadL_ZNS_16gelu_tanh_kernelIS2_EES3_S5_EELb1EEEvPS3_PS4_i.numbered_sgpr, 18
	.set _ZN4vllm18act_and_mul_kernelIN3c104HalfETnPFT_RKS3_EXadL_ZNS_16gelu_tanh_kernelIS2_EES3_S5_EELb1EEEvPS3_PS4_i.num_named_barrier, 0
	.set _ZN4vllm18act_and_mul_kernelIN3c104HalfETnPFT_RKS3_EXadL_ZNS_16gelu_tanh_kernelIS2_EES3_S5_EELb1EEEvPS3_PS4_i.private_seg_size, 0
	.set _ZN4vllm18act_and_mul_kernelIN3c104HalfETnPFT_RKS3_EXadL_ZNS_16gelu_tanh_kernelIS2_EES3_S5_EELb1EEEvPS3_PS4_i.uses_vcc, 1
	.set _ZN4vllm18act_and_mul_kernelIN3c104HalfETnPFT_RKS3_EXadL_ZNS_16gelu_tanh_kernelIS2_EES3_S5_EELb1EEEvPS3_PS4_i.uses_flat_scratch, 0
	.set _ZN4vllm18act_and_mul_kernelIN3c104HalfETnPFT_RKS3_EXadL_ZNS_16gelu_tanh_kernelIS2_EES3_S5_EELb1EEEvPS3_PS4_i.has_dyn_sized_stack, 0
	.set _ZN4vllm18act_and_mul_kernelIN3c104HalfETnPFT_RKS3_EXadL_ZNS_16gelu_tanh_kernelIS2_EES3_S5_EELb1EEEvPS3_PS4_i.has_recursion, 0
	.set _ZN4vllm18act_and_mul_kernelIN3c104HalfETnPFT_RKS3_EXadL_ZNS_16gelu_tanh_kernelIS2_EES3_S5_EELb1EEEvPS3_PS4_i.has_indirect_call, 0
	.section	.AMDGPU.csdata,"",@progbits
; Kernel info:
; codeLenInByte = 640
; TotalNumSgprs: 20
; NumVgprs: 11
; ScratchSize: 0
; MemoryBound: 0
; FloatMode: 240
; IeeeMode: 1
; LDSByteSize: 0 bytes/workgroup (compile time only)
; SGPRBlocks: 0
; VGPRBlocks: 1
; NumSGPRsForWavesPerEU: 20
; NumVGPRsForWavesPerEU: 11
; Occupancy: 16
; WaveLimiterHint : 0
; COMPUTE_PGM_RSRC2:SCRATCH_EN: 0
; COMPUTE_PGM_RSRC2:USER_SGPR: 2
; COMPUTE_PGM_RSRC2:TRAP_HANDLER: 0
; COMPUTE_PGM_RSRC2:TGID_X_EN: 1
; COMPUTE_PGM_RSRC2:TGID_Y_EN: 0
; COMPUTE_PGM_RSRC2:TGID_Z_EN: 0
; COMPUTE_PGM_RSRC2:TIDIG_COMP_CNT: 0
	.section	.text._ZN4vllm18act_and_mul_kernelIN3c108BFloat16ETnPFT_RKS3_EXadL_ZNS_16gelu_tanh_kernelIS2_EES3_S5_EELb1EEEvPS3_PS4_i,"axG",@progbits,_ZN4vllm18act_and_mul_kernelIN3c108BFloat16ETnPFT_RKS3_EXadL_ZNS_16gelu_tanh_kernelIS2_EES3_S5_EELb1EEEvPS3_PS4_i,comdat
	.protected	_ZN4vllm18act_and_mul_kernelIN3c108BFloat16ETnPFT_RKS3_EXadL_ZNS_16gelu_tanh_kernelIS2_EES3_S5_EELb1EEEvPS3_PS4_i ; -- Begin function _ZN4vllm18act_and_mul_kernelIN3c108BFloat16ETnPFT_RKS3_EXadL_ZNS_16gelu_tanh_kernelIS2_EES3_S5_EELb1EEEvPS3_PS4_i
	.globl	_ZN4vllm18act_and_mul_kernelIN3c108BFloat16ETnPFT_RKS3_EXadL_ZNS_16gelu_tanh_kernelIS2_EES3_S5_EELb1EEEvPS3_PS4_i
	.p2align	8
	.type	_ZN4vllm18act_and_mul_kernelIN3c108BFloat16ETnPFT_RKS3_EXadL_ZNS_16gelu_tanh_kernelIS2_EES3_S5_EELb1EEEvPS3_PS4_i,@function
_ZN4vllm18act_and_mul_kernelIN3c108BFloat16ETnPFT_RKS3_EXadL_ZNS_16gelu_tanh_kernelIS2_EES3_S5_EELb1EEEvPS3_PS4_i: ; @_ZN4vllm18act_and_mul_kernelIN3c108BFloat16ETnPFT_RKS3_EXadL_ZNS_16gelu_tanh_kernelIS2_EES3_S5_EELb1EEEvPS3_PS4_i
; %bb.0:
	s_load_b32 s2, s[0:1], 0x10
	s_mov_b32 s3, exec_lo
	s_wait_kmcnt 0x0
	v_cmpx_gt_i32_e64 s2, v0
	s_cbranch_execz .LBB11_7
; %bb.1:
	s_clause 0x1
	s_load_b128 s[8:11], s[0:1], 0x0
	s_load_b32 s14, s[0:1], 0x24
	s_mov_b32 s4, ttmp9
	s_ashr_i32 s3, s2, 31
	s_mov_b32 s5, 0
	v_dual_mov_b32 v1, 0 :: v_dual_lshlrev_b32 v2, 1, v0
	s_wait_alu 0xfffe
	s_mul_u64 s[0:1], s[4:5], s[2:3]
	s_lshl_b64 s[12:13], s[2:3], 1
	s_lshl_b64 s[6:7], s[0:1], 2
	;; [unrolled: 1-line block ×3, first 2 shown]
	v_mov_b32_e32 v3, v1
	s_wait_kmcnt 0x0
	s_add_nc_u64 s[6:7], s[10:11], s[6:7]
	s_add_nc_u64 s[8:9], s[8:9], s[0:1]
	s_and_b32 s1, s14, 0xffff
	s_add_nc_u64 s[10:11], s[6:7], s[12:13]
	s_lshl_b32 s4, s1, 1
	s_mov_b32 s12, 0xbbbac73d
	s_branch .LBB11_3
.LBB11_2:                               ;   in Loop: Header=BB11_3 Depth=1
	s_wait_alu 0xfffe
	s_or_b32 exec_lo, exec_lo, s0
	s_delay_alu instid0(VALU_DEP_1) | instskip(SKIP_2) | instid1(VALU_DEP_2)
	v_bfi_b32 v6, 0x7fffffff, v7, v6
	s_wait_loadcnt 0x0
	v_dual_mul_f32 v5, 0.5, v5 :: v_dual_lshlrev_b32 v4, 16, v4
	v_add_f32_e32 v6, 1.0, v6
	s_delay_alu instid0(VALU_DEP_1) | instskip(NEXT) | instid1(VALU_DEP_1)
	v_mul_f32_e32 v5, v5, v6
	v_bfe_u32 v6, v5, 16, 1
	v_cmp_o_f32_e32 vcc_lo, v5, v5
	s_delay_alu instid0(VALU_DEP_2) | instskip(NEXT) | instid1(VALU_DEP_1)
	v_add3_u32 v6, v5, v6, 0x7fff
	v_and_b32_e32 v6, 0xffff0000, v6
	s_wait_alu 0xfffd
	s_delay_alu instid0(VALU_DEP_1) | instskip(SKIP_3) | instid1(VALU_DEP_3)
	v_cndmask_b32_e32 v5, 0x7fc00000, v6, vcc_lo
	v_add_co_u32 v0, vcc_lo, v0, s1
	s_wait_alu 0xfffd
	v_add_co_ci_u32_e64 v1, null, 0, v1, vcc_lo
	v_mul_f32_e32 v6, v5, v4
	s_delay_alu instid0(VALU_DEP_1) | instskip(SKIP_1) | instid1(VALU_DEP_2)
	v_bfe_u32 v4, v6, 16, 1
	v_cmp_o_f32_e64 s0, v6, v6
	v_add3_u32 v4, v6, v4, 0x7fff
	s_delay_alu instid0(VALU_DEP_1)
	v_lshrrev_b32_e32 v7, 16, v4
	v_add_co_u32 v4, vcc_lo, s8, v2
	s_wait_alu 0xfffd
	v_add_co_ci_u32_e64 v5, null, s9, v3, vcc_lo
	v_cmp_le_i64_e32 vcc_lo, s[2:3], v[0:1]
	s_wait_alu 0xf1ff
	v_cndmask_b32_e64 v6, 0x7fc0, v7, s0
	v_add_co_u32 v2, s0, v2, s4
	s_wait_alu 0xf1ff
	v_add_co_ci_u32_e64 v3, null, 0, v3, s0
	s_or_b32 s5, vcc_lo, s5
	global_store_b16 v[4:5], v6, off
	s_wait_alu 0xfffe
	s_and_not1_b32 exec_lo, exec_lo, s5
	s_cbranch_execz .LBB11_7
.LBB11_3:                               ; =>This Inner Loop Header: Depth=1
	v_add_co_u32 v4, vcc_lo, s6, v2
	s_wait_alu 0xfffd
	v_add_co_ci_u32_e64 v5, null, s7, v3, vcc_lo
                                        ; implicit-def: $vgpr7
	global_load_u16 v6, v[4:5], off
	v_add_co_u32 v4, vcc_lo, s10, v2
	s_wait_alu 0xfffd
	v_add_co_ci_u32_e64 v5, null, s11, v3, vcc_lo
	global_load_u16 v4, v[4:5], off
	s_wait_loadcnt 0x1
	v_lshlrev_b32_e32 v5, 16, v6
	s_delay_alu instid0(VALU_DEP_1) | instskip(NEXT) | instid1(VALU_DEP_1)
	v_mul_f32_e32 v6, v5, v5
	v_mul_f32_e32 v6, v6, v5
	s_delay_alu instid0(VALU_DEP_1) | instskip(NEXT) | instid1(VALU_DEP_1)
	v_fmamk_f32 v6, v6, 0x3d372713, v5
	v_mul_f32_e32 v6, 0x3f4c422a, v6
	s_delay_alu instid0(VALU_DEP_1)
	v_cmp_ngt_f32_e64 s0, 0x3f200000, |v6|
	s_and_saveexec_b32 s13, s0
	s_wait_alu 0xfffe
	s_xor_b32 s0, exec_lo, s13
	s_cbranch_execz .LBB11_5
; %bb.4:                                ;   in Loop: Header=BB11_3 Depth=1
	v_add_f32_e64 v7, |v6|, |v6|
	s_delay_alu instid0(VALU_DEP_1) | instskip(SKIP_1) | instid1(VALU_DEP_2)
	v_mul_f32_e32 v8, 0x3fb8aa3b, v7
	v_cmp_ngt_f32_e32 vcc_lo, 0xc2ce8ed0, v7
	v_rndne_f32_e32 v9, v8
	v_fma_f32 v10, 0x3fb8aa3b, v7, -v8
	s_delay_alu instid0(VALU_DEP_2) | instskip(NEXT) | instid1(VALU_DEP_2)
	v_sub_f32_e32 v8, v8, v9
	v_fmac_f32_e32 v10, 0x32a5705f, v7
	v_cvt_i32_f32_e32 v9, v9
	s_delay_alu instid0(VALU_DEP_2) | instskip(NEXT) | instid1(VALU_DEP_1)
	v_add_f32_e32 v8, v8, v10
	v_exp_f32_e32 v8, v8
	s_delay_alu instid0(TRANS32_DEP_1) | instskip(SKIP_1) | instid1(VALU_DEP_1)
	v_ldexp_f32 v8, v8, v9
	s_wait_alu 0xfffd
	v_cndmask_b32_e32 v8, 0, v8, vcc_lo
	v_cmp_nlt_f32_e32 vcc_lo, 0x42b17218, v7
	s_wait_alu 0xfffd
	s_delay_alu instid0(VALU_DEP_2) | instskip(NEXT) | instid1(VALU_DEP_1)
	v_cndmask_b32_e32 v7, 0x7f800000, v8, vcc_lo
	v_add_f32_e32 v7, 1.0, v7
	s_delay_alu instid0(VALU_DEP_1) | instskip(NEXT) | instid1(TRANS32_DEP_1)
	v_rcp_f32_e32 v7, v7
	v_fma_f32 v7, v7, -2.0, 1.0
.LBB11_5:                               ;   in Loop: Header=BB11_3 Depth=1
	s_wait_alu 0xfffe
	s_and_not1_saveexec_b32 s0, s0
	s_cbranch_execz .LBB11_2
; %bb.6:                                ;   in Loop: Header=BB11_3 Depth=1
	v_mul_f32_e32 v7, v6, v6
	s_delay_alu instid0(VALU_DEP_1) | instskip(NEXT) | instid1(VALU_DEP_1)
	v_fmaak_f32 v8, s12, v7, 0x3ca908c9
	v_fmaak_f32 v8, v7, v8, 0xbd5c1c4e
	s_delay_alu instid0(VALU_DEP_1) | instskip(NEXT) | instid1(VALU_DEP_1)
	v_fmaak_f32 v8, v7, v8, 0x3e088382
	v_fmaak_f32 v8, v7, v8, 0xbeaaaa99
	s_delay_alu instid0(VALU_DEP_1) | instskip(NEXT) | instid1(VALU_DEP_1)
	v_mul_f32_e64 v8, |v6|, v8
	v_fma_f32 v7, v7, v8, |v6|
	s_branch .LBB11_2
.LBB11_7:
	s_endpgm
	.section	.rodata,"a",@progbits
	.p2align	6, 0x0
	.amdhsa_kernel _ZN4vllm18act_and_mul_kernelIN3c108BFloat16ETnPFT_RKS3_EXadL_ZNS_16gelu_tanh_kernelIS2_EES3_S5_EELb1EEEvPS3_PS4_i
		.amdhsa_group_segment_fixed_size 0
		.amdhsa_private_segment_fixed_size 0
		.amdhsa_kernarg_size 280
		.amdhsa_user_sgpr_count 2
		.amdhsa_user_sgpr_dispatch_ptr 0
		.amdhsa_user_sgpr_queue_ptr 0
		.amdhsa_user_sgpr_kernarg_segment_ptr 1
		.amdhsa_user_sgpr_dispatch_id 0
		.amdhsa_user_sgpr_private_segment_size 0
		.amdhsa_wavefront_size32 1
		.amdhsa_uses_dynamic_stack 0
		.amdhsa_enable_private_segment 0
		.amdhsa_system_sgpr_workgroup_id_x 1
		.amdhsa_system_sgpr_workgroup_id_y 0
		.amdhsa_system_sgpr_workgroup_id_z 0
		.amdhsa_system_sgpr_workgroup_info 0
		.amdhsa_system_vgpr_workitem_id 0
		.amdhsa_next_free_vgpr 11
		.amdhsa_next_free_sgpr 15
		.amdhsa_reserve_vcc 1
		.amdhsa_float_round_mode_32 0
		.amdhsa_float_round_mode_16_64 0
		.amdhsa_float_denorm_mode_32 3
		.amdhsa_float_denorm_mode_16_64 3
		.amdhsa_fp16_overflow 0
		.amdhsa_workgroup_processor_mode 1
		.amdhsa_memory_ordered 1
		.amdhsa_forward_progress 1
		.amdhsa_inst_pref_size 6
		.amdhsa_round_robin_scheduling 0
		.amdhsa_exception_fp_ieee_invalid_op 0
		.amdhsa_exception_fp_denorm_src 0
		.amdhsa_exception_fp_ieee_div_zero 0
		.amdhsa_exception_fp_ieee_overflow 0
		.amdhsa_exception_fp_ieee_underflow 0
		.amdhsa_exception_fp_ieee_inexact 0
		.amdhsa_exception_int_div_zero 0
	.end_amdhsa_kernel
	.section	.text._ZN4vllm18act_and_mul_kernelIN3c108BFloat16ETnPFT_RKS3_EXadL_ZNS_16gelu_tanh_kernelIS2_EES3_S5_EELb1EEEvPS3_PS4_i,"axG",@progbits,_ZN4vllm18act_and_mul_kernelIN3c108BFloat16ETnPFT_RKS3_EXadL_ZNS_16gelu_tanh_kernelIS2_EES3_S5_EELb1EEEvPS3_PS4_i,comdat
.Lfunc_end11:
	.size	_ZN4vllm18act_and_mul_kernelIN3c108BFloat16ETnPFT_RKS3_EXadL_ZNS_16gelu_tanh_kernelIS2_EES3_S5_EELb1EEEvPS3_PS4_i, .Lfunc_end11-_ZN4vllm18act_and_mul_kernelIN3c108BFloat16ETnPFT_RKS3_EXadL_ZNS_16gelu_tanh_kernelIS2_EES3_S5_EELb1EEEvPS3_PS4_i
                                        ; -- End function
	.set _ZN4vllm18act_and_mul_kernelIN3c108BFloat16ETnPFT_RKS3_EXadL_ZNS_16gelu_tanh_kernelIS2_EES3_S5_EELb1EEEvPS3_PS4_i.num_vgpr, 11
	.set _ZN4vllm18act_and_mul_kernelIN3c108BFloat16ETnPFT_RKS3_EXadL_ZNS_16gelu_tanh_kernelIS2_EES3_S5_EELb1EEEvPS3_PS4_i.num_agpr, 0
	.set _ZN4vllm18act_and_mul_kernelIN3c108BFloat16ETnPFT_RKS3_EXadL_ZNS_16gelu_tanh_kernelIS2_EES3_S5_EELb1EEEvPS3_PS4_i.numbered_sgpr, 15
	.set _ZN4vllm18act_and_mul_kernelIN3c108BFloat16ETnPFT_RKS3_EXadL_ZNS_16gelu_tanh_kernelIS2_EES3_S5_EELb1EEEvPS3_PS4_i.num_named_barrier, 0
	.set _ZN4vllm18act_and_mul_kernelIN3c108BFloat16ETnPFT_RKS3_EXadL_ZNS_16gelu_tanh_kernelIS2_EES3_S5_EELb1EEEvPS3_PS4_i.private_seg_size, 0
	.set _ZN4vllm18act_and_mul_kernelIN3c108BFloat16ETnPFT_RKS3_EXadL_ZNS_16gelu_tanh_kernelIS2_EES3_S5_EELb1EEEvPS3_PS4_i.uses_vcc, 1
	.set _ZN4vllm18act_and_mul_kernelIN3c108BFloat16ETnPFT_RKS3_EXadL_ZNS_16gelu_tanh_kernelIS2_EES3_S5_EELb1EEEvPS3_PS4_i.uses_flat_scratch, 0
	.set _ZN4vllm18act_and_mul_kernelIN3c108BFloat16ETnPFT_RKS3_EXadL_ZNS_16gelu_tanh_kernelIS2_EES3_S5_EELb1EEEvPS3_PS4_i.has_dyn_sized_stack, 0
	.set _ZN4vllm18act_and_mul_kernelIN3c108BFloat16ETnPFT_RKS3_EXadL_ZNS_16gelu_tanh_kernelIS2_EES3_S5_EELb1EEEvPS3_PS4_i.has_recursion, 0
	.set _ZN4vllm18act_and_mul_kernelIN3c108BFloat16ETnPFT_RKS3_EXadL_ZNS_16gelu_tanh_kernelIS2_EES3_S5_EELb1EEEvPS3_PS4_i.has_indirect_call, 0
	.section	.AMDGPU.csdata,"",@progbits
; Kernel info:
; codeLenInByte = 744
; TotalNumSgprs: 17
; NumVgprs: 11
; ScratchSize: 0
; MemoryBound: 0
; FloatMode: 240
; IeeeMode: 1
; LDSByteSize: 0 bytes/workgroup (compile time only)
; SGPRBlocks: 0
; VGPRBlocks: 1
; NumSGPRsForWavesPerEU: 17
; NumVGPRsForWavesPerEU: 11
; Occupancy: 16
; WaveLimiterHint : 0
; COMPUTE_PGM_RSRC2:SCRATCH_EN: 0
; COMPUTE_PGM_RSRC2:USER_SGPR: 2
; COMPUTE_PGM_RSRC2:TRAP_HANDLER: 0
; COMPUTE_PGM_RSRC2:TGID_X_EN: 1
; COMPUTE_PGM_RSRC2:TGID_Y_EN: 0
; COMPUTE_PGM_RSRC2:TGID_Z_EN: 0
; COMPUTE_PGM_RSRC2:TIDIG_COMP_CNT: 0
	.section	.text._ZN4vllm29act_and_mul_kernel_with_paramIfTnPFT_RKS1_fEXadL_ZNS_14fatrelu_kernelIfEES1_S3_fEEEEvPS1_PS2_if,"axG",@progbits,_ZN4vllm29act_and_mul_kernel_with_paramIfTnPFT_RKS1_fEXadL_ZNS_14fatrelu_kernelIfEES1_S3_fEEEEvPS1_PS2_if,comdat
	.protected	_ZN4vllm29act_and_mul_kernel_with_paramIfTnPFT_RKS1_fEXadL_ZNS_14fatrelu_kernelIfEES1_S3_fEEEEvPS1_PS2_if ; -- Begin function _ZN4vllm29act_and_mul_kernel_with_paramIfTnPFT_RKS1_fEXadL_ZNS_14fatrelu_kernelIfEES1_S3_fEEEEvPS1_PS2_if
	.globl	_ZN4vllm29act_and_mul_kernel_with_paramIfTnPFT_RKS1_fEXadL_ZNS_14fatrelu_kernelIfEES1_S3_fEEEEvPS1_PS2_if
	.p2align	8
	.type	_ZN4vllm29act_and_mul_kernel_with_paramIfTnPFT_RKS1_fEXadL_ZNS_14fatrelu_kernelIfEES1_S3_fEEEEvPS1_PS2_if,@function
_ZN4vllm29act_and_mul_kernel_with_paramIfTnPFT_RKS1_fEXadL_ZNS_14fatrelu_kernelIfEES1_S3_fEEEEvPS1_PS2_if: ; @_ZN4vllm29act_and_mul_kernel_with_paramIfTnPFT_RKS1_fEXadL_ZNS_14fatrelu_kernelIfEES1_S3_fEEEEvPS1_PS2_if
; %bb.0:
	s_load_b64 s[2:3], s[0:1], 0x10
	s_mov_b32 s4, exec_lo
	s_wait_kmcnt 0x0
	v_cmpx_gt_i32_e64 s2, v0
	s_cbranch_execz .LBB12_3
; %bb.1:
	s_clause 0x1
	s_load_b128 s[12:15], s[0:1], 0x0
	s_load_b32 s18, s[0:1], 0x24
	s_mov_b32 s4, ttmp9
	s_ashr_i32 s7, s2, 31
	s_mov_b32 s6, s2
	s_mov_b32 s5, 0
	v_dual_mov_b32 v1, 0 :: v_dual_lshlrev_b32 v2, 2, v0
	s_mul_u64 s[0:1], s[4:5], s[6:7]
	s_lshl_b64 s[16:17], s[6:7], 2
	s_lshl_b64 s[8:9], s[0:1], 3
	;; [unrolled: 1-line block ×3, first 2 shown]
	v_mov_b32_e32 v3, v1
	s_wait_kmcnt 0x0
	s_add_nc_u64 s[8:9], s[14:15], s[8:9]
	s_add_nc_u64 s[10:11], s[12:13], s[0:1]
	s_and_b32 s1, s18, 0xffff
	s_add_nc_u64 s[12:13], s[8:9], s[16:17]
	s_lshl_b32 s2, s1, 2
.LBB12_2:                               ; =>This Inner Loop Header: Depth=1
	v_add_co_u32 v4, vcc_lo, s8, v2
	s_wait_alu 0xfffd
	v_add_co_ci_u32_e64 v5, null, s9, v3, vcc_lo
	v_add_co_u32 v6, vcc_lo, s12, v2
	s_wait_alu 0xfffd
	v_add_co_ci_u32_e64 v7, null, s13, v3, vcc_lo
	s_clause 0x1
	global_load_b32 v8, v[4:5], off
	global_load_b32 v6, v[6:7], off
	v_add_co_u32 v0, vcc_lo, v0, s1
	s_wait_alu 0xfffd
	v_add_co_ci_u32_e64 v1, null, 0, v1, vcc_lo
	v_add_co_u32 v4, vcc_lo, s10, v2
	s_wait_alu 0xfffd
	v_add_co_ci_u32_e64 v5, null, s11, v3, vcc_lo
	s_wait_alu 0xfffe
	v_add_co_u32 v2, s0, v2, s2
	s_wait_alu 0xf1ff
	v_add_co_ci_u32_e64 v3, null, 0, v3, s0
	s_wait_loadcnt 0x1
	v_cmp_lt_f32_e32 vcc_lo, s3, v8
	s_wait_alu 0xfffd
	v_cndmask_b32_e32 v7, 0, v8, vcc_lo
	v_cmp_le_i64_e32 vcc_lo, s[6:7], v[0:1]
	s_wait_loadcnt 0x0
	s_delay_alu instid0(VALU_DEP_2)
	v_mul_f32_e32 v6, v6, v7
	s_or_b32 s5, vcc_lo, s5
	global_store_b32 v[4:5], v6, off
	s_and_not1_b32 exec_lo, exec_lo, s5
	s_cbranch_execnz .LBB12_2
.LBB12_3:
	s_endpgm
	.section	.rodata,"a",@progbits
	.p2align	6, 0x0
	.amdhsa_kernel _ZN4vllm29act_and_mul_kernel_with_paramIfTnPFT_RKS1_fEXadL_ZNS_14fatrelu_kernelIfEES1_S3_fEEEEvPS1_PS2_if
		.amdhsa_group_segment_fixed_size 0
		.amdhsa_private_segment_fixed_size 0
		.amdhsa_kernarg_size 280
		.amdhsa_user_sgpr_count 2
		.amdhsa_user_sgpr_dispatch_ptr 0
		.amdhsa_user_sgpr_queue_ptr 0
		.amdhsa_user_sgpr_kernarg_segment_ptr 1
		.amdhsa_user_sgpr_dispatch_id 0
		.amdhsa_user_sgpr_private_segment_size 0
		.amdhsa_wavefront_size32 1
		.amdhsa_uses_dynamic_stack 0
		.amdhsa_enable_private_segment 0
		.amdhsa_system_sgpr_workgroup_id_x 1
		.amdhsa_system_sgpr_workgroup_id_y 0
		.amdhsa_system_sgpr_workgroup_id_z 0
		.amdhsa_system_sgpr_workgroup_info 0
		.amdhsa_system_vgpr_workitem_id 0
		.amdhsa_next_free_vgpr 9
		.amdhsa_next_free_sgpr 19
		.amdhsa_reserve_vcc 1
		.amdhsa_float_round_mode_32 0
		.amdhsa_float_round_mode_16_64 0
		.amdhsa_float_denorm_mode_32 3
		.amdhsa_float_denorm_mode_16_64 3
		.amdhsa_fp16_overflow 0
		.amdhsa_workgroup_processor_mode 1
		.amdhsa_memory_ordered 1
		.amdhsa_forward_progress 1
		.amdhsa_inst_pref_size 3
		.amdhsa_round_robin_scheduling 0
		.amdhsa_exception_fp_ieee_invalid_op 0
		.amdhsa_exception_fp_denorm_src 0
		.amdhsa_exception_fp_ieee_div_zero 0
		.amdhsa_exception_fp_ieee_overflow 0
		.amdhsa_exception_fp_ieee_underflow 0
		.amdhsa_exception_fp_ieee_inexact 0
		.amdhsa_exception_int_div_zero 0
	.end_amdhsa_kernel
	.section	.text._ZN4vllm29act_and_mul_kernel_with_paramIfTnPFT_RKS1_fEXadL_ZNS_14fatrelu_kernelIfEES1_S3_fEEEEvPS1_PS2_if,"axG",@progbits,_ZN4vllm29act_and_mul_kernel_with_paramIfTnPFT_RKS1_fEXadL_ZNS_14fatrelu_kernelIfEES1_S3_fEEEEvPS1_PS2_if,comdat
.Lfunc_end12:
	.size	_ZN4vllm29act_and_mul_kernel_with_paramIfTnPFT_RKS1_fEXadL_ZNS_14fatrelu_kernelIfEES1_S3_fEEEEvPS1_PS2_if, .Lfunc_end12-_ZN4vllm29act_and_mul_kernel_with_paramIfTnPFT_RKS1_fEXadL_ZNS_14fatrelu_kernelIfEES1_S3_fEEEEvPS1_PS2_if
                                        ; -- End function
	.set _ZN4vllm29act_and_mul_kernel_with_paramIfTnPFT_RKS1_fEXadL_ZNS_14fatrelu_kernelIfEES1_S3_fEEEEvPS1_PS2_if.num_vgpr, 9
	.set _ZN4vllm29act_and_mul_kernel_with_paramIfTnPFT_RKS1_fEXadL_ZNS_14fatrelu_kernelIfEES1_S3_fEEEEvPS1_PS2_if.num_agpr, 0
	.set _ZN4vllm29act_and_mul_kernel_with_paramIfTnPFT_RKS1_fEXadL_ZNS_14fatrelu_kernelIfEES1_S3_fEEEEvPS1_PS2_if.numbered_sgpr, 19
	.set _ZN4vllm29act_and_mul_kernel_with_paramIfTnPFT_RKS1_fEXadL_ZNS_14fatrelu_kernelIfEES1_S3_fEEEEvPS1_PS2_if.num_named_barrier, 0
	.set _ZN4vllm29act_and_mul_kernel_with_paramIfTnPFT_RKS1_fEXadL_ZNS_14fatrelu_kernelIfEES1_S3_fEEEEvPS1_PS2_if.private_seg_size, 0
	.set _ZN4vllm29act_and_mul_kernel_with_paramIfTnPFT_RKS1_fEXadL_ZNS_14fatrelu_kernelIfEES1_S3_fEEEEvPS1_PS2_if.uses_vcc, 1
	.set _ZN4vllm29act_and_mul_kernel_with_paramIfTnPFT_RKS1_fEXadL_ZNS_14fatrelu_kernelIfEES1_S3_fEEEEvPS1_PS2_if.uses_flat_scratch, 0
	.set _ZN4vllm29act_and_mul_kernel_with_paramIfTnPFT_RKS1_fEXadL_ZNS_14fatrelu_kernelIfEES1_S3_fEEEEvPS1_PS2_if.has_dyn_sized_stack, 0
	.set _ZN4vllm29act_and_mul_kernel_with_paramIfTnPFT_RKS1_fEXadL_ZNS_14fatrelu_kernelIfEES1_S3_fEEEEvPS1_PS2_if.has_recursion, 0
	.set _ZN4vllm29act_and_mul_kernel_with_paramIfTnPFT_RKS1_fEXadL_ZNS_14fatrelu_kernelIfEES1_S3_fEEEEvPS1_PS2_if.has_indirect_call, 0
	.section	.AMDGPU.csdata,"",@progbits
; Kernel info:
; codeLenInByte = 312
; TotalNumSgprs: 21
; NumVgprs: 9
; ScratchSize: 0
; MemoryBound: 0
; FloatMode: 240
; IeeeMode: 1
; LDSByteSize: 0 bytes/workgroup (compile time only)
; SGPRBlocks: 0
; VGPRBlocks: 1
; NumSGPRsForWavesPerEU: 21
; NumVGPRsForWavesPerEU: 9
; Occupancy: 16
; WaveLimiterHint : 0
; COMPUTE_PGM_RSRC2:SCRATCH_EN: 0
; COMPUTE_PGM_RSRC2:USER_SGPR: 2
; COMPUTE_PGM_RSRC2:TRAP_HANDLER: 0
; COMPUTE_PGM_RSRC2:TGID_X_EN: 1
; COMPUTE_PGM_RSRC2:TGID_Y_EN: 0
; COMPUTE_PGM_RSRC2:TGID_Z_EN: 0
; COMPUTE_PGM_RSRC2:TIDIG_COMP_CNT: 0
	.section	.text._ZN4vllm29act_and_mul_kernel_with_paramIN3c104HalfETnPFT_RKS3_fEXadL_ZNS_14fatrelu_kernelIS2_EES3_S5_fEEEEvPS3_PS4_if,"axG",@progbits,_ZN4vllm29act_and_mul_kernel_with_paramIN3c104HalfETnPFT_RKS3_fEXadL_ZNS_14fatrelu_kernelIS2_EES3_S5_fEEEEvPS3_PS4_if,comdat
	.protected	_ZN4vllm29act_and_mul_kernel_with_paramIN3c104HalfETnPFT_RKS3_fEXadL_ZNS_14fatrelu_kernelIS2_EES3_S5_fEEEEvPS3_PS4_if ; -- Begin function _ZN4vllm29act_and_mul_kernel_with_paramIN3c104HalfETnPFT_RKS3_fEXadL_ZNS_14fatrelu_kernelIS2_EES3_S5_fEEEEvPS3_PS4_if
	.globl	_ZN4vllm29act_and_mul_kernel_with_paramIN3c104HalfETnPFT_RKS3_fEXadL_ZNS_14fatrelu_kernelIS2_EES3_S5_fEEEEvPS3_PS4_if
	.p2align	8
	.type	_ZN4vllm29act_and_mul_kernel_with_paramIN3c104HalfETnPFT_RKS3_fEXadL_ZNS_14fatrelu_kernelIS2_EES3_S5_fEEEEvPS3_PS4_if,@function
_ZN4vllm29act_and_mul_kernel_with_paramIN3c104HalfETnPFT_RKS3_fEXadL_ZNS_14fatrelu_kernelIS2_EES3_S5_fEEEEvPS3_PS4_if: ; @_ZN4vllm29act_and_mul_kernel_with_paramIN3c104HalfETnPFT_RKS3_fEXadL_ZNS_14fatrelu_kernelIS2_EES3_S5_fEEEEvPS3_PS4_if
; %bb.0:
	s_load_b64 s[2:3], s[0:1], 0x10
	s_mov_b32 s4, exec_lo
	s_wait_kmcnt 0x0
	v_cmpx_gt_i32_e64 s2, v0
	s_cbranch_execz .LBB13_8
; %bb.1:
	v_dual_mov_b32 v1, 0 :: v_dual_add_nc_u32 v2, 1, v0
	s_ashr_i32 s9, s2, 31
	s_clause 0x1
	s_load_b32 s10, s[0:1], 0x24
	s_load_b128 s[4:7], s[0:1], 0x0
	v_mov_b32_e32 v3, v1
	s_mov_b32 s8, s2
	s_mov_b32 s12, ttmp9
	s_mov_b32 s13, 0
	s_mov_b32 s0, -1
	v_cmp_lt_i64_e32 vcc_lo, s[8:9], v[2:3]
	s_mul_u64 s[14:15], s[12:13], s[8:9]
	v_cndmask_b32_e32 v2, s2, v2, vcc_lo
	v_cndmask_b32_e64 v3, s9, 0, vcc_lo
	s_delay_alu instid0(VALU_DEP_2) | instskip(SKIP_1) | instid1(VALU_DEP_2)
	v_sub_co_u32 v2, vcc_lo, v2, v0
	s_wait_alu 0xfffd
	v_subrev_co_ci_u32_e64 v3, null, 0, v3, vcc_lo
	s_wait_kmcnt 0x0
	s_and_b32 s1, s10, 0xffff
	s_lshl_b64 s[10:11], s[14:15], 2
	s_cmp_eq_u32 s1, 1
	v_cmp_lt_u64_e32 vcc_lo, 1, v[2:3]
	s_cselect_b32 s2, -1, 0
	s_add_nc_u64 s[10:11], s[6:7], s[10:11]
	s_wait_alu 0xfffe
	s_and_b32 s16, vcc_lo, s2
	s_delay_alu instid0(SALU_CYCLE_1)
	s_and_saveexec_b32 s2, s16
	s_cbranch_execz .LBB13_5
; %bb.2:
	v_lshlrev_b64_e32 v[10:11], 1, v[0:1]
	s_lshl_b64 s[16:17], s[12:13], 2
	s_lshl_b64 s[18:19], s[14:15], 1
	s_or_b32 s16, s16, 2
	s_add_nc_u64 s[18:19], s[4:5], s[18:19]
	s_mul_u64 s[16:17], s[16:17], s[8:9]
	v_add_co_u32 v6, vcc_lo, s18, v10
	s_add_nc_u64 s[6:7], s[6:7], s[16:17]
	v_dual_mov_b32 v5, v3 :: v_dual_and_b32 v4, -2, v2
	s_wait_alu 0xfffd
	v_add_co_ci_u32_e64 v7, null, s19, v11, vcc_lo
	v_add_co_u32 v8, vcc_lo, s6, v10
	s_wait_alu 0xfffd
	v_add_co_ci_u32_e64 v9, null, s7, v11, vcc_lo
	v_add_co_u32 v10, vcc_lo, s10, v10
	s_wait_alu 0xfffd
	v_add_co_ci_u32_e64 v11, null, s11, v11, vcc_lo
	v_dual_mov_b32 v13, v5 :: v_dual_mov_b32 v12, v4
	s_mov_b32 s6, s3
.LBB13_3:                               ; =>This Inner Loop Header: Depth=1
	global_load_b32 v1, v[10:11], off
	global_load_b32 v14, v[8:9], off
	v_add_co_u32 v12, vcc_lo, v12, -2
	s_wait_alu 0xfffd
	v_add_co_ci_u32_e64 v13, null, -1, v13, vcc_lo
	v_add_co_u32 v8, vcc_lo, v8, 4
	s_wait_alu 0xfffd
	v_add_co_ci_u32_e64 v9, null, 0, v9, vcc_lo
	v_add_co_u32 v10, vcc_lo, v10, 4
	s_wait_alu 0xfffd
	v_add_co_ci_u32_e64 v11, null, 0, v11, vcc_lo
	v_cmp_eq_u64_e32 vcc_lo, 0, v[12:13]
	s_or_b32 s13, vcc_lo, s13
	s_wait_loadcnt 0x1
	v_lshrrev_b32_e32 v15, 16, v1
	v_cvt_f32_f16_e32 v16, v1
	s_delay_alu instid0(VALU_DEP_2) | instskip(SKIP_1) | instid1(VALU_DEP_2)
	v_cvt_f32_f16_e32 v17, v15
	s_wait_alu 0xfffe
	v_cmp_lt_f32_e64 s0, s6, v16
	s_wait_alu 0xf1ff
	s_delay_alu instid0(VALU_DEP_1) | instskip(SKIP_2) | instid1(VALU_DEP_1)
	v_cndmask_b32_e64 v1, 0, v1, s0
	v_cmp_lt_f32_e64 s0, s3, v17
	s_wait_alu 0xf1ff
	v_cndmask_b32_e64 v15, 0, v15, s0
	s_delay_alu instid0(VALU_DEP_1) | instskip(SKIP_1) | instid1(VALU_DEP_1)
	v_perm_b32 v1, v15, v1, 0x5040100
	s_wait_loadcnt 0x0
	v_pk_mul_f16 v1, v14, v1
	global_store_b32 v[6:7], v1, off
	v_add_co_u32 v6, s0, v6, 4
	s_wait_alu 0xf1ff
	v_add_co_ci_u32_e64 v7, null, 0, v7, s0
	s_and_not1_b32 exec_lo, exec_lo, s13
	s_cbranch_execnz .LBB13_3
; %bb.4:
	s_or_b32 exec_lo, exec_lo, s13
	v_cmp_ne_u64_e32 vcc_lo, v[2:3], v[4:5]
	v_add_co_u32 v0, s0, v4, v0
	s_wait_alu 0xf1ff
	v_add_co_ci_u32_e64 v1, null, 0, v5, s0
	s_or_not1_b32 s0, vcc_lo, exec_lo
.LBB13_5:
	s_wait_alu 0xfffe
	s_or_b32 exec_lo, exec_lo, s2
	s_delay_alu instid0(SALU_CYCLE_1)
	s_and_b32 exec_lo, exec_lo, s0
	s_cbranch_execz .LBB13_8
; %bb.6:
	v_lshlrev_b64_e32 v[2:3], 1, v[0:1]
	s_lshl_b64 s[6:7], s[8:9], 1
	s_lshl_b64 s[12:13], s[14:15], 1
	s_wait_alu 0xfffe
	s_add_nc_u64 s[6:7], s[10:11], s[6:7]
	s_add_nc_u64 s[4:5], s[4:5], s[12:13]
	s_mov_b32 s2, 0
	s_lshl_b32 s12, s1, 1
.LBB13_7:                               ; =>This Inner Loop Header: Depth=1
	v_add_co_u32 v4, vcc_lo, s10, v2
	s_wait_alu 0xfffd
	v_add_co_ci_u32_e64 v5, null, s11, v3, vcc_lo
	v_add_co_u32 v0, s0, v0, s1
	s_wait_alu 0xf1ff
	v_add_co_ci_u32_e64 v1, null, 0, v1, s0
	global_load_u16 v6, v[4:5], off
	s_wait_alu 0xfffe
	v_add_co_u32 v4, vcc_lo, s6, v2
	s_wait_alu 0xfffd
	v_add_co_ci_u32_e64 v5, null, s7, v3, vcc_lo
	global_load_u16 v7, v[4:5], off
	v_add_co_u32 v4, vcc_lo, s4, v2
	s_wait_alu 0xfffd
	v_add_co_ci_u32_e64 v5, null, s5, v3, vcc_lo
	v_add_co_u32 v2, s0, v2, s12
	s_wait_alu 0xf1ff
	v_add_co_ci_u32_e64 v3, null, 0, v3, s0
	s_wait_loadcnt 0x1
	v_cvt_f32_f16_e32 v8, v6
	s_delay_alu instid0(VALU_DEP_1) | instskip(SKIP_4) | instid1(VALU_DEP_2)
	v_cmp_lt_f32_e32 vcc_lo, s3, v8
	s_wait_alu 0xfffd
	v_cndmask_b32_e32 v6, 0, v6, vcc_lo
	v_cmp_le_i64_e32 vcc_lo, s[8:9], v[0:1]
	s_wait_loadcnt 0x0
	v_mul_f16_e32 v6, v7, v6
	s_or_b32 s2, vcc_lo, s2
	global_store_b16 v[4:5], v6, off
	s_wait_alu 0xfffe
	s_and_not1_b32 exec_lo, exec_lo, s2
	s_cbranch_execnz .LBB13_7
.LBB13_8:
	s_endpgm
	.section	.rodata,"a",@progbits
	.p2align	6, 0x0
	.amdhsa_kernel _ZN4vllm29act_and_mul_kernel_with_paramIN3c104HalfETnPFT_RKS3_fEXadL_ZNS_14fatrelu_kernelIS2_EES3_S5_fEEEEvPS3_PS4_if
		.amdhsa_group_segment_fixed_size 0
		.amdhsa_private_segment_fixed_size 0
		.amdhsa_kernarg_size 280
		.amdhsa_user_sgpr_count 2
		.amdhsa_user_sgpr_dispatch_ptr 0
		.amdhsa_user_sgpr_queue_ptr 0
		.amdhsa_user_sgpr_kernarg_segment_ptr 1
		.amdhsa_user_sgpr_dispatch_id 0
		.amdhsa_user_sgpr_private_segment_size 0
		.amdhsa_wavefront_size32 1
		.amdhsa_uses_dynamic_stack 0
		.amdhsa_enable_private_segment 0
		.amdhsa_system_sgpr_workgroup_id_x 1
		.amdhsa_system_sgpr_workgroup_id_y 0
		.amdhsa_system_sgpr_workgroup_id_z 0
		.amdhsa_system_sgpr_workgroup_info 0
		.amdhsa_system_vgpr_workitem_id 0
		.amdhsa_next_free_vgpr 18
		.amdhsa_next_free_sgpr 20
		.amdhsa_reserve_vcc 1
		.amdhsa_float_round_mode_32 0
		.amdhsa_float_round_mode_16_64 0
		.amdhsa_float_denorm_mode_32 3
		.amdhsa_float_denorm_mode_16_64 3
		.amdhsa_fp16_overflow 0
		.amdhsa_workgroup_processor_mode 1
		.amdhsa_memory_ordered 1
		.amdhsa_forward_progress 1
		.amdhsa_inst_pref_size 7
		.amdhsa_round_robin_scheduling 0
		.amdhsa_exception_fp_ieee_invalid_op 0
		.amdhsa_exception_fp_denorm_src 0
		.amdhsa_exception_fp_ieee_div_zero 0
		.amdhsa_exception_fp_ieee_overflow 0
		.amdhsa_exception_fp_ieee_underflow 0
		.amdhsa_exception_fp_ieee_inexact 0
		.amdhsa_exception_int_div_zero 0
	.end_amdhsa_kernel
	.section	.text._ZN4vllm29act_and_mul_kernel_with_paramIN3c104HalfETnPFT_RKS3_fEXadL_ZNS_14fatrelu_kernelIS2_EES3_S5_fEEEEvPS3_PS4_if,"axG",@progbits,_ZN4vllm29act_and_mul_kernel_with_paramIN3c104HalfETnPFT_RKS3_fEXadL_ZNS_14fatrelu_kernelIS2_EES3_S5_fEEEEvPS3_PS4_if,comdat
.Lfunc_end13:
	.size	_ZN4vllm29act_and_mul_kernel_with_paramIN3c104HalfETnPFT_RKS3_fEXadL_ZNS_14fatrelu_kernelIS2_EES3_S5_fEEEEvPS3_PS4_if, .Lfunc_end13-_ZN4vllm29act_and_mul_kernel_with_paramIN3c104HalfETnPFT_RKS3_fEXadL_ZNS_14fatrelu_kernelIS2_EES3_S5_fEEEEvPS3_PS4_if
                                        ; -- End function
	.set _ZN4vllm29act_and_mul_kernel_with_paramIN3c104HalfETnPFT_RKS3_fEXadL_ZNS_14fatrelu_kernelIS2_EES3_S5_fEEEEvPS3_PS4_if.num_vgpr, 18
	.set _ZN4vllm29act_and_mul_kernel_with_paramIN3c104HalfETnPFT_RKS3_fEXadL_ZNS_14fatrelu_kernelIS2_EES3_S5_fEEEEvPS3_PS4_if.num_agpr, 0
	.set _ZN4vllm29act_and_mul_kernel_with_paramIN3c104HalfETnPFT_RKS3_fEXadL_ZNS_14fatrelu_kernelIS2_EES3_S5_fEEEEvPS3_PS4_if.numbered_sgpr, 20
	.set _ZN4vllm29act_and_mul_kernel_with_paramIN3c104HalfETnPFT_RKS3_fEXadL_ZNS_14fatrelu_kernelIS2_EES3_S5_fEEEEvPS3_PS4_if.num_named_barrier, 0
	.set _ZN4vllm29act_and_mul_kernel_with_paramIN3c104HalfETnPFT_RKS3_fEXadL_ZNS_14fatrelu_kernelIS2_EES3_S5_fEEEEvPS3_PS4_if.private_seg_size, 0
	.set _ZN4vllm29act_and_mul_kernel_with_paramIN3c104HalfETnPFT_RKS3_fEXadL_ZNS_14fatrelu_kernelIS2_EES3_S5_fEEEEvPS3_PS4_if.uses_vcc, 1
	.set _ZN4vllm29act_and_mul_kernel_with_paramIN3c104HalfETnPFT_RKS3_fEXadL_ZNS_14fatrelu_kernelIS2_EES3_S5_fEEEEvPS3_PS4_if.uses_flat_scratch, 0
	.set _ZN4vllm29act_and_mul_kernel_with_paramIN3c104HalfETnPFT_RKS3_fEXadL_ZNS_14fatrelu_kernelIS2_EES3_S5_fEEEEvPS3_PS4_if.has_dyn_sized_stack, 0
	.set _ZN4vllm29act_and_mul_kernel_with_paramIN3c104HalfETnPFT_RKS3_fEXadL_ZNS_14fatrelu_kernelIS2_EES3_S5_fEEEEvPS3_PS4_if.has_recursion, 0
	.set _ZN4vllm29act_and_mul_kernel_with_paramIN3c104HalfETnPFT_RKS3_fEXadL_ZNS_14fatrelu_kernelIS2_EES3_S5_fEEEEvPS3_PS4_if.has_indirect_call, 0
	.section	.AMDGPU.csdata,"",@progbits
; Kernel info:
; codeLenInByte = 792
; TotalNumSgprs: 22
; NumVgprs: 18
; ScratchSize: 0
; MemoryBound: 0
; FloatMode: 240
; IeeeMode: 1
; LDSByteSize: 0 bytes/workgroup (compile time only)
; SGPRBlocks: 0
; VGPRBlocks: 2
; NumSGPRsForWavesPerEU: 22
; NumVGPRsForWavesPerEU: 18
; Occupancy: 16
; WaveLimiterHint : 0
; COMPUTE_PGM_RSRC2:SCRATCH_EN: 0
; COMPUTE_PGM_RSRC2:USER_SGPR: 2
; COMPUTE_PGM_RSRC2:TRAP_HANDLER: 0
; COMPUTE_PGM_RSRC2:TGID_X_EN: 1
; COMPUTE_PGM_RSRC2:TGID_Y_EN: 0
; COMPUTE_PGM_RSRC2:TGID_Z_EN: 0
; COMPUTE_PGM_RSRC2:TIDIG_COMP_CNT: 0
	.section	.text._ZN4vllm29act_and_mul_kernel_with_paramIN3c108BFloat16ETnPFT_RKS3_fEXadL_ZNS_14fatrelu_kernelIS2_EES3_S5_fEEEEvPS3_PS4_if,"axG",@progbits,_ZN4vllm29act_and_mul_kernel_with_paramIN3c108BFloat16ETnPFT_RKS3_fEXadL_ZNS_14fatrelu_kernelIS2_EES3_S5_fEEEEvPS3_PS4_if,comdat
	.protected	_ZN4vllm29act_and_mul_kernel_with_paramIN3c108BFloat16ETnPFT_RKS3_fEXadL_ZNS_14fatrelu_kernelIS2_EES3_S5_fEEEEvPS3_PS4_if ; -- Begin function _ZN4vllm29act_and_mul_kernel_with_paramIN3c108BFloat16ETnPFT_RKS3_fEXadL_ZNS_14fatrelu_kernelIS2_EES3_S5_fEEEEvPS3_PS4_if
	.globl	_ZN4vllm29act_and_mul_kernel_with_paramIN3c108BFloat16ETnPFT_RKS3_fEXadL_ZNS_14fatrelu_kernelIS2_EES3_S5_fEEEEvPS3_PS4_if
	.p2align	8
	.type	_ZN4vllm29act_and_mul_kernel_with_paramIN3c108BFloat16ETnPFT_RKS3_fEXadL_ZNS_14fatrelu_kernelIS2_EES3_S5_fEEEEvPS3_PS4_if,@function
_ZN4vllm29act_and_mul_kernel_with_paramIN3c108BFloat16ETnPFT_RKS3_fEXadL_ZNS_14fatrelu_kernelIS2_EES3_S5_fEEEEvPS3_PS4_if: ; @_ZN4vllm29act_and_mul_kernel_with_paramIN3c108BFloat16ETnPFT_RKS3_fEXadL_ZNS_14fatrelu_kernelIS2_EES3_S5_fEEEEvPS3_PS4_if
; %bb.0:
	s_load_b64 s[2:3], s[0:1], 0x10
	s_mov_b32 s4, exec_lo
	s_wait_kmcnt 0x0
	v_cmpx_gt_i32_e64 s2, v0
	s_cbranch_execz .LBB14_8
; %bb.1:
	v_dual_mov_b32 v1, 0 :: v_dual_add_nc_u32 v2, 1, v0
	s_ashr_i32 s9, s2, 31
	s_clause 0x1
	s_load_b32 s10, s[0:1], 0x24
	s_load_b128 s[4:7], s[0:1], 0x0
	v_mov_b32_e32 v3, v1
	s_mov_b32 s8, s2
	s_mov_b32 s12, ttmp9
	s_mov_b32 s13, 0
	s_mov_b32 s0, -1
	v_cmp_lt_i64_e32 vcc_lo, s[8:9], v[2:3]
	s_mul_u64 s[14:15], s[12:13], s[8:9]
	v_cndmask_b32_e32 v2, s2, v2, vcc_lo
	v_cndmask_b32_e64 v3, s9, 0, vcc_lo
	s_delay_alu instid0(VALU_DEP_2) | instskip(SKIP_1) | instid1(VALU_DEP_2)
	v_sub_co_u32 v2, vcc_lo, v2, v0
	s_wait_alu 0xfffd
	v_subrev_co_ci_u32_e64 v3, null, 0, v3, vcc_lo
	s_wait_kmcnt 0x0
	s_and_b32 s2, s10, 0xffff
	s_lshl_b64 s[10:11], s[14:15], 2
	s_wait_alu 0xfffe
	s_cmp_eq_u32 s2, 1
	v_cmp_lt_u64_e32 vcc_lo, 1, v[2:3]
	s_cselect_b32 s1, -1, 0
	s_add_nc_u64 s[10:11], s[6:7], s[10:11]
	s_and_b32 s1, vcc_lo, s1
	s_delay_alu instid0(SALU_CYCLE_1)
	s_and_saveexec_b32 s16, s1
	s_cbranch_execz .LBB14_5
; %bb.2:
	v_lshlrev_b64_e32 v[10:11], 1, v[0:1]
	s_lshl_b64 s[0:1], s[12:13], 2
	s_lshl_b64 s[18:19], s[14:15], 1
	s_or_b32 s0, s0, 2
	s_add_nc_u64 s[18:19], s[4:5], s[18:19]
	s_mul_u64 s[0:1], s[0:1], s[8:9]
	v_add_co_u32 v6, vcc_lo, s18, v10
	s_add_nc_u64 s[0:1], s[6:7], s[0:1]
	v_dual_mov_b32 v5, v3 :: v_dual_and_b32 v4, -2, v2
	s_wait_alu 0xfffd
	v_add_co_ci_u32_e64 v7, null, s19, v11, vcc_lo
	v_add_co_u32 v8, vcc_lo, s0, v10
	s_wait_alu 0xfffd
	v_add_co_ci_u32_e64 v9, null, s1, v11, vcc_lo
	v_add_co_u32 v10, vcc_lo, s10, v10
	s_wait_alu 0xfffd
	v_add_co_ci_u32_e64 v11, null, s11, v11, vcc_lo
	v_dual_mov_b32 v13, v5 :: v_dual_mov_b32 v12, v4
	s_mov_b32 s6, s3
.LBB14_3:                               ; =>This Inner Loop Header: Depth=1
	global_load_b32 v1, v[10:11], off
	global_load_b32 v14, v[8:9], off
	v_add_co_u32 v12, vcc_lo, v12, -2
	s_wait_alu 0xfffd
	v_add_co_ci_u32_e64 v13, null, -1, v13, vcc_lo
	v_add_co_u32 v8, vcc_lo, v8, 4
	s_wait_alu 0xfffd
	v_add_co_ci_u32_e64 v9, null, 0, v9, vcc_lo
	v_add_co_u32 v10, vcc_lo, v10, 4
	s_wait_alu 0xfffd
	v_add_co_ci_u32_e64 v11, null, 0, v11, vcc_lo
	v_cmp_eq_u64_e32 vcc_lo, 0, v[12:13]
	s_or_b32 s13, vcc_lo, s13
	s_wait_loadcnt 0x1
	v_lshlrev_b32_e32 v15, 16, v1
	s_wait_loadcnt 0x0
	v_and_b32_e32 v16, 0xffff0000, v14
	v_and_b32_e32 v1, 0xffff0000, v1
	v_lshlrev_b32_e32 v14, 16, v14
	v_cmp_lt_f32_e64 s0, s6, v15
	s_wait_alu 0xf1ff
	s_delay_alu instid0(VALU_DEP_1) | instskip(SKIP_1) | instid1(VALU_DEP_2)
	v_cndmask_b32_e64 v15, 0, v15, s0
	v_cmp_lt_f32_e64 s0, s3, v1
	v_lshrrev_b32_e32 v17, 16, v15
	s_wait_alu 0xf1ff
	s_delay_alu instid0(VALU_DEP_2) | instskip(SKIP_1) | instid1(VALU_DEP_3)
	v_cndmask_b32_e64 v1, 0, v1, s0
	v_cmp_o_f32_e64 s1, v15, v15
	v_and_b32_e32 v17, 1, v17
	s_delay_alu instid0(VALU_DEP_3) | instskip(SKIP_1) | instid1(VALU_DEP_3)
	v_lshrrev_b32_e32 v18, 16, v1
	v_cmp_o_f32_e64 s0, v1, v1
	v_or_b32_e32 v17, v15, v17
	s_delay_alu instid0(VALU_DEP_3) | instskip(NEXT) | instid1(VALU_DEP_2)
	v_and_b32_e32 v18, 1, v18
	v_add_nc_u32_e32 v17, 0x7fff, v17
	s_delay_alu instid0(VALU_DEP_2) | instskip(NEXT) | instid1(VALU_DEP_2)
	v_or_b32_e32 v18, v1, v18
	v_and_b32_e32 v17, 0xffff0000, v17
	s_delay_alu instid0(VALU_DEP_2) | instskip(SKIP_1) | instid1(VALU_DEP_2)
	v_add_nc_u32_e32 v18, 0x7fff, v18
	s_wait_alu 0xf1ff
	v_cndmask_b32_e64 v1, 0x7fc00000, v17, s1
	s_delay_alu instid0(VALU_DEP_2) | instskip(NEXT) | instid1(VALU_DEP_2)
	v_and_b32_e32 v18, 0xffff0000, v18
	v_mul_f32_e32 v1, v1, v14
	s_delay_alu instid0(VALU_DEP_2) | instskip(NEXT) | instid1(VALU_DEP_1)
	v_cndmask_b32_e64 v15, 0x7fc00000, v18, s0
	v_mul_f32_e32 v14, v15, v16
	s_delay_alu instid0(VALU_DEP_1) | instskip(SKIP_1) | instid1(VALU_DEP_2)
	v_lshrrev_b32_e32 v16, 16, v14
	v_cmp_o_f32_e64 s0, v14, v14
	v_and_b32_e32 v16, 1, v16
	v_lshrrev_b32_e32 v15, 16, v1
	v_cmp_o_f32_e64 s1, v1, v1
	s_delay_alu instid0(VALU_DEP_3) | instskip(NEXT) | instid1(VALU_DEP_3)
	v_add3_u32 v16, v14, v16, 0x7fff
	v_and_b32_e32 v15, 1, v15
	s_delay_alu instid0(VALU_DEP_2) | instskip(NEXT) | instid1(VALU_DEP_2)
	v_lshrrev_b32_e32 v16, 16, v16
	v_add3_u32 v15, v1, v15, 0x7fff
	s_wait_alu 0xf1ff
	s_delay_alu instid0(VALU_DEP_2) | instskip(NEXT) | instid1(VALU_DEP_2)
	v_cndmask_b32_e64 v14, 0x7fc0, v16, s0
	v_lshrrev_b32_e32 v15, 16, v15
	s_delay_alu instid0(VALU_DEP_1) | instskip(NEXT) | instid1(VALU_DEP_1)
	v_cndmask_b32_e64 v1, 0x7fc0, v15, s1
	v_perm_b32 v1, v14, v1, 0x5040100
	global_store_b32 v[6:7], v1, off
	v_add_co_u32 v6, s0, v6, 4
	s_wait_alu 0xf1ff
	v_add_co_ci_u32_e64 v7, null, 0, v7, s0
	s_and_not1_b32 exec_lo, exec_lo, s13
	s_cbranch_execnz .LBB14_3
; %bb.4:
	s_or_b32 exec_lo, exec_lo, s13
	v_cmp_ne_u64_e32 vcc_lo, v[2:3], v[4:5]
	v_add_co_u32 v0, s0, v4, v0
	s_wait_alu 0xf1ff
	v_add_co_ci_u32_e64 v1, null, 0, v5, s0
	s_or_not1_b32 s0, vcc_lo, exec_lo
.LBB14_5:
	s_or_b32 exec_lo, exec_lo, s16
	s_wait_alu 0xfffe
	s_and_b32 exec_lo, exec_lo, s0
	s_cbranch_execz .LBB14_8
; %bb.6:
	v_lshlrev_b64_e32 v[2:3], 1, v[0:1]
	s_lshl_b64 s[0:1], s[8:9], 1
	s_lshl_b64 s[12:13], s[14:15], 1
	s_wait_alu 0xfffe
	s_add_nc_u64 s[6:7], s[10:11], s[0:1]
	s_add_nc_u64 s[4:5], s[4:5], s[12:13]
	s_mov_b32 s12, 0
	s_lshl_b32 s13, s2, 1
.LBB14_7:                               ; =>This Inner Loop Header: Depth=1
	v_add_co_u32 v4, vcc_lo, s10, v2
	s_wait_alu 0xfffd
	v_add_co_ci_u32_e64 v5, null, s11, v3, vcc_lo
	global_load_u16 v6, v[4:5], off
	s_wait_alu 0xfffe
	v_add_co_u32 v4, vcc_lo, s6, v2
	s_wait_alu 0xfffd
	v_add_co_ci_u32_e64 v5, null, s7, v3, vcc_lo
	global_load_u16 v4, v[4:5], off
	s_wait_loadcnt 0x1
	v_lshlrev_b32_e32 v5, 16, v6
	s_delay_alu instid0(VALU_DEP_1) | instskip(SKIP_2) | instid1(VALU_DEP_1)
	v_cmp_lt_f32_e32 vcc_lo, s3, v5
	s_wait_alu 0xfffd
	v_cndmask_b32_e32 v5, 0, v5, vcc_lo
	v_lshrrev_b32_e32 v6, 16, v5
	s_delay_alu instid0(VALU_DEP_1) | instskip(NEXT) | instid1(VALU_DEP_1)
	v_and_or_b32 v6, v6, 1, v5
	v_add_nc_u32_e32 v6, 0x7fff, v6
	v_cmp_o_f32_e32 vcc_lo, v5, v5
	s_delay_alu instid0(VALU_DEP_2) | instskip(SKIP_2) | instid1(VALU_DEP_1)
	v_and_b32_e32 v6, 0xffff0000, v6
	s_wait_loadcnt 0x0
	s_wait_alu 0xfffd
	v_dual_cndmask_b32 v5, 0x7fc00000, v6 :: v_dual_lshlrev_b32 v4, 16, v4
	v_add_co_u32 v0, vcc_lo, v0, s2
	s_wait_alu 0xfffd
	v_add_co_ci_u32_e64 v1, null, 0, v1, vcc_lo
	s_delay_alu instid0(VALU_DEP_3) | instskip(NEXT) | instid1(VALU_DEP_2)
	v_mul_f32_e32 v6, v5, v4
	v_cmp_le_i64_e64 s0, s[8:9], v[0:1]
	s_delay_alu instid0(VALU_DEP_2)
	v_bfe_u32 v4, v6, 16, 1
	v_cmp_o_f32_e64 s1, v6, v6
	s_or_b32 s12, s0, s12
	v_add3_u32 v7, v6, v4, 0x7fff
	v_add_co_u32 v4, vcc_lo, s4, v2
	s_wait_alu 0xfffd
	v_add_co_ci_u32_e64 v5, null, s5, v3, vcc_lo
	s_delay_alu instid0(VALU_DEP_3) | instskip(SKIP_3) | instid1(VALU_DEP_3)
	v_lshrrev_b32_e32 v7, 16, v7
	v_add_co_u32 v2, vcc_lo, v2, s13
	s_wait_alu 0xfffd
	v_add_co_ci_u32_e64 v3, null, 0, v3, vcc_lo
	v_cndmask_b32_e64 v6, 0x7fc0, v7, s1
	global_store_b16 v[4:5], v6, off
	s_wait_alu 0xfffe
	s_and_not1_b32 exec_lo, exec_lo, s12
	s_cbranch_execnz .LBB14_7
.LBB14_8:
	s_endpgm
	.section	.rodata,"a",@progbits
	.p2align	6, 0x0
	.amdhsa_kernel _ZN4vllm29act_and_mul_kernel_with_paramIN3c108BFloat16ETnPFT_RKS3_fEXadL_ZNS_14fatrelu_kernelIS2_EES3_S5_fEEEEvPS3_PS4_if
		.amdhsa_group_segment_fixed_size 0
		.amdhsa_private_segment_fixed_size 0
		.amdhsa_kernarg_size 280
		.amdhsa_user_sgpr_count 2
		.amdhsa_user_sgpr_dispatch_ptr 0
		.amdhsa_user_sgpr_queue_ptr 0
		.amdhsa_user_sgpr_kernarg_segment_ptr 1
		.amdhsa_user_sgpr_dispatch_id 0
		.amdhsa_user_sgpr_private_segment_size 0
		.amdhsa_wavefront_size32 1
		.amdhsa_uses_dynamic_stack 0
		.amdhsa_enable_private_segment 0
		.amdhsa_system_sgpr_workgroup_id_x 1
		.amdhsa_system_sgpr_workgroup_id_y 0
		.amdhsa_system_sgpr_workgroup_id_z 0
		.amdhsa_system_sgpr_workgroup_info 0
		.amdhsa_system_vgpr_workitem_id 0
		.amdhsa_next_free_vgpr 19
		.amdhsa_next_free_sgpr 20
		.amdhsa_reserve_vcc 1
		.amdhsa_float_round_mode_32 0
		.amdhsa_float_round_mode_16_64 0
		.amdhsa_float_denorm_mode_32 3
		.amdhsa_float_denorm_mode_16_64 3
		.amdhsa_fp16_overflow 0
		.amdhsa_workgroup_processor_mode 1
		.amdhsa_memory_ordered 1
		.amdhsa_forward_progress 1
		.amdhsa_inst_pref_size 9
		.amdhsa_round_robin_scheduling 0
		.amdhsa_exception_fp_ieee_invalid_op 0
		.amdhsa_exception_fp_denorm_src 0
		.amdhsa_exception_fp_ieee_div_zero 0
		.amdhsa_exception_fp_ieee_overflow 0
		.amdhsa_exception_fp_ieee_underflow 0
		.amdhsa_exception_fp_ieee_inexact 0
		.amdhsa_exception_int_div_zero 0
	.end_amdhsa_kernel
	.section	.text._ZN4vllm29act_and_mul_kernel_with_paramIN3c108BFloat16ETnPFT_RKS3_fEXadL_ZNS_14fatrelu_kernelIS2_EES3_S5_fEEEEvPS3_PS4_if,"axG",@progbits,_ZN4vllm29act_and_mul_kernel_with_paramIN3c108BFloat16ETnPFT_RKS3_fEXadL_ZNS_14fatrelu_kernelIS2_EES3_S5_fEEEEvPS3_PS4_if,comdat
.Lfunc_end14:
	.size	_ZN4vllm29act_and_mul_kernel_with_paramIN3c108BFloat16ETnPFT_RKS3_fEXadL_ZNS_14fatrelu_kernelIS2_EES3_S5_fEEEEvPS3_PS4_if, .Lfunc_end14-_ZN4vllm29act_and_mul_kernel_with_paramIN3c108BFloat16ETnPFT_RKS3_fEXadL_ZNS_14fatrelu_kernelIS2_EES3_S5_fEEEEvPS3_PS4_if
                                        ; -- End function
	.set _ZN4vllm29act_and_mul_kernel_with_paramIN3c108BFloat16ETnPFT_RKS3_fEXadL_ZNS_14fatrelu_kernelIS2_EES3_S5_fEEEEvPS3_PS4_if.num_vgpr, 19
	.set _ZN4vllm29act_and_mul_kernel_with_paramIN3c108BFloat16ETnPFT_RKS3_fEXadL_ZNS_14fatrelu_kernelIS2_EES3_S5_fEEEEvPS3_PS4_if.num_agpr, 0
	.set _ZN4vllm29act_and_mul_kernel_with_paramIN3c108BFloat16ETnPFT_RKS3_fEXadL_ZNS_14fatrelu_kernelIS2_EES3_S5_fEEEEvPS3_PS4_if.numbered_sgpr, 20
	.set _ZN4vllm29act_and_mul_kernel_with_paramIN3c108BFloat16ETnPFT_RKS3_fEXadL_ZNS_14fatrelu_kernelIS2_EES3_S5_fEEEEvPS3_PS4_if.num_named_barrier, 0
	.set _ZN4vllm29act_and_mul_kernel_with_paramIN3c108BFloat16ETnPFT_RKS3_fEXadL_ZNS_14fatrelu_kernelIS2_EES3_S5_fEEEEvPS3_PS4_if.private_seg_size, 0
	.set _ZN4vllm29act_and_mul_kernel_with_paramIN3c108BFloat16ETnPFT_RKS3_fEXadL_ZNS_14fatrelu_kernelIS2_EES3_S5_fEEEEvPS3_PS4_if.uses_vcc, 1
	.set _ZN4vllm29act_and_mul_kernel_with_paramIN3c108BFloat16ETnPFT_RKS3_fEXadL_ZNS_14fatrelu_kernelIS2_EES3_S5_fEEEEvPS3_PS4_if.uses_flat_scratch, 0
	.set _ZN4vllm29act_and_mul_kernel_with_paramIN3c108BFloat16ETnPFT_RKS3_fEXadL_ZNS_14fatrelu_kernelIS2_EES3_S5_fEEEEvPS3_PS4_if.has_dyn_sized_stack, 0
	.set _ZN4vllm29act_and_mul_kernel_with_paramIN3c108BFloat16ETnPFT_RKS3_fEXadL_ZNS_14fatrelu_kernelIS2_EES3_S5_fEEEEvPS3_PS4_if.has_recursion, 0
	.set _ZN4vllm29act_and_mul_kernel_with_paramIN3c108BFloat16ETnPFT_RKS3_fEXadL_ZNS_14fatrelu_kernelIS2_EES3_S5_fEEEEvPS3_PS4_if.has_indirect_call, 0
	.section	.AMDGPU.csdata,"",@progbits
; Kernel info:
; codeLenInByte = 1144
; TotalNumSgprs: 22
; NumVgprs: 19
; ScratchSize: 0
; MemoryBound: 0
; FloatMode: 240
; IeeeMode: 1
; LDSByteSize: 0 bytes/workgroup (compile time only)
; SGPRBlocks: 0
; VGPRBlocks: 2
; NumSGPRsForWavesPerEU: 22
; NumVGPRsForWavesPerEU: 19
; Occupancy: 16
; WaveLimiterHint : 0
; COMPUTE_PGM_RSRC2:SCRATCH_EN: 0
; COMPUTE_PGM_RSRC2:USER_SGPR: 2
; COMPUTE_PGM_RSRC2:TRAP_HANDLER: 0
; COMPUTE_PGM_RSRC2:TGID_X_EN: 1
; COMPUTE_PGM_RSRC2:TGID_Y_EN: 0
; COMPUTE_PGM_RSRC2:TGID_Z_EN: 0
; COMPUTE_PGM_RSRC2:TIDIG_COMP_CNT: 0
	.section	.text._ZN4vllm24swigluoai_and_mul_kernelIfTnPFT_RKS1_S3_ffEXadL_ZNS_17swigluoai_and_mulIfEES1_S3_S3_ffEEEEvPS1_PS2_iff,"axG",@progbits,_ZN4vllm24swigluoai_and_mul_kernelIfTnPFT_RKS1_S3_ffEXadL_ZNS_17swigluoai_and_mulIfEES1_S3_S3_ffEEEEvPS1_PS2_iff,comdat
	.protected	_ZN4vllm24swigluoai_and_mul_kernelIfTnPFT_RKS1_S3_ffEXadL_ZNS_17swigluoai_and_mulIfEES1_S3_S3_ffEEEEvPS1_PS2_iff ; -- Begin function _ZN4vllm24swigluoai_and_mul_kernelIfTnPFT_RKS1_S3_ffEXadL_ZNS_17swigluoai_and_mulIfEES1_S3_S3_ffEEEEvPS1_PS2_iff
	.globl	_ZN4vllm24swigluoai_and_mul_kernelIfTnPFT_RKS1_S3_ffEXadL_ZNS_17swigluoai_and_mulIfEES1_S3_S3_ffEEEEvPS1_PS2_iff
	.p2align	8
	.type	_ZN4vllm24swigluoai_and_mul_kernelIfTnPFT_RKS1_S3_ffEXadL_ZNS_17swigluoai_and_mulIfEES1_S3_S3_ffEEEEvPS1_PS2_iff,@function
_ZN4vllm24swigluoai_and_mul_kernelIfTnPFT_RKS1_S3_ffEXadL_ZNS_17swigluoai_and_mulIfEES1_S3_S3_ffEEEEvPS1_PS2_iff: ; @_ZN4vllm24swigluoai_and_mul_kernelIfTnPFT_RKS1_S3_ffEXadL_ZNS_17swigluoai_and_mulIfEES1_S3_S3_ffEEEEvPS1_PS2_iff
; %bb.0:
	s_load_b96 s[4:6], s[0:1], 0x10
	s_mov_b32 s2, exec_lo
	s_wait_kmcnt 0x0
	v_cmpx_gt_i32_e64 s4, v0
	s_cbranch_execz .LBB15_3
; %bb.1:
	s_clause 0x1
	s_load_b32 s7, s[0:1], 0x2c
	s_load_b128 s[12:15], s[0:1], 0x0
	s_mov_b32 s2, ttmp9
	s_ashr_i32 s9, s4, 31
	s_mov_b32 s8, s4
	s_mov_b32 s3, 0
	v_lshlrev_b32_e32 v3, 3, v0
	s_mul_u64 s[0:1], s[2:3], s[8:9]
	v_dual_mov_b32 v1, 0 :: v_dual_lshlrev_b32 v2, 2, v0
	s_lshl_b64 s[10:11], s[0:1], 3
	s_lshl_b64 s[0:1], s[0:1], 2
	s_wait_kmcnt 0x0
	s_and_b32 s2, s7, 0xffff
	s_add_nc_u64 s[10:11], s[14:15], s[10:11]
	s_add_nc_u64 s[0:1], s[12:13], s[0:1]
	v_add_co_u32 v4, s4, s10, v3
	s_wait_alu 0xf1ff
	v_add_co_ci_u32_e64 v5, null, s11, 0, s4
	v_add_co_u32 v2, s0, s0, v2
	s_delay_alu instid0(VALU_DEP_3)
	v_add_co_u32 v4, vcc_lo, v4, 4
	s_wait_alu 0xf1ff
	v_add_co_ci_u32_e64 v3, null, s1, 0, s0
	v_add_co_ci_u32_e64 v5, null, 0, v5, vcc_lo
	s_lshl_b32 s4, s2, 2
	s_lshl_b32 s7, s2, 3
.LBB15_2:                               ; =>This Inner Loop Header: Depth=1
	global_load_b64 v[6:7], v[4:5], off offset:-4
	v_add_co_u32 v0, vcc_lo, v0, s2
	s_wait_alu 0xfffd
	v_add_co_ci_u32_e64 v1, null, 0, v1, vcc_lo
	v_add_co_u32 v4, vcc_lo, v4, s7
	s_wait_alu 0xfffd
	v_add_co_ci_u32_e64 v5, null, 0, v5, vcc_lo
	s_delay_alu instid0(VALU_DEP_3)
	v_cmp_le_i64_e64 s0, s[8:9], v[0:1]
	s_or_b32 s3, s0, s3
	s_wait_loadcnt 0x0
	v_cmp_lt_f32_e32 vcc_lo, s6, v6
	v_cmp_lt_f32_e64 s1, v7, -s6
	s_wait_alu 0xfffd
	v_cndmask_b32_e64 v6, v6, s6, vcc_lo
	s_wait_alu 0xf1ff
	s_delay_alu instid0(VALU_DEP_2) | instskip(SKIP_1) | instid1(VALU_DEP_3)
	v_cndmask_b32_e64 v8, v7, -s6, s1
	v_cmp_lt_f32_e32 vcc_lo, s6, v7
	v_mul_f32_e64 v7, s5, -v6
	s_wait_alu 0xfffd
	s_delay_alu instid0(VALU_DEP_3) | instskip(NEXT) | instid1(VALU_DEP_2)
	v_cndmask_b32_e64 v8, v8, s6, vcc_lo
	v_mul_f32_e32 v9, 0x3fb8aa3b, v7
	v_cmp_ngt_f32_e64 s1, 0xc2ce8ed0, v7
	s_delay_alu instid0(VALU_DEP_3) | instskip(NEXT) | instid1(VALU_DEP_3)
	v_add_f32_e32 v8, 1.0, v8
	v_fma_f32 v10, 0x3fb8aa3b, v7, -v9
	v_rndne_f32_e32 v11, v9
	s_delay_alu instid0(VALU_DEP_2) | instskip(NEXT) | instid1(VALU_DEP_2)
	v_fmac_f32_e32 v10, 0x32a5705f, v7
	v_sub_f32_e32 v9, v9, v11
	s_delay_alu instid0(VALU_DEP_1) | instskip(SKIP_1) | instid1(VALU_DEP_2)
	v_add_f32_e32 v9, v9, v10
	v_cvt_i32_f32_e32 v10, v11
	v_exp_f32_e32 v9, v9
	s_delay_alu instid0(TRANS32_DEP_1) | instskip(SKIP_1) | instid1(VALU_DEP_1)
	v_ldexp_f32 v9, v9, v10
	s_wait_alu 0xf1ff
	v_cndmask_b32_e64 v9, 0, v9, s1
	v_cmp_nlt_f32_e64 s1, 0x42b17218, v7
	s_wait_alu 0xf1ff
	s_delay_alu instid0(VALU_DEP_1) | instskip(NEXT) | instid1(VALU_DEP_1)
	v_cndmask_b32_e64 v7, 0x7f800000, v9, s1
	v_add_f32_e32 v7, 1.0, v7
	s_delay_alu instid0(VALU_DEP_1) | instskip(SKIP_1) | instid1(VALU_DEP_2)
	v_div_scale_f32 v9, null, v7, v7, 1.0
	v_div_scale_f32 v11, vcc_lo, 1.0, v7, 1.0
	v_rcp_f32_e32 v10, v9
	s_delay_alu instid0(TRANS32_DEP_1) | instskip(NEXT) | instid1(VALU_DEP_1)
	v_fma_f32 v12, -v9, v10, 1.0
	v_fmac_f32_e32 v10, v12, v10
	s_delay_alu instid0(VALU_DEP_1) | instskip(NEXT) | instid1(VALU_DEP_1)
	v_mul_f32_e32 v12, v11, v10
	v_fma_f32 v13, -v9, v12, v11
	s_delay_alu instid0(VALU_DEP_1) | instskip(NEXT) | instid1(VALU_DEP_1)
	v_fmac_f32_e32 v12, v13, v10
	v_fma_f32 v9, -v9, v12, v11
	s_wait_alu 0xfffd
	s_delay_alu instid0(VALU_DEP_1) | instskip(NEXT) | instid1(VALU_DEP_1)
	v_div_fmas_f32 v9, v9, v10, v12
	v_div_fixup_f32 v7, v9, v7, 1.0
	s_delay_alu instid0(VALU_DEP_1) | instskip(NEXT) | instid1(VALU_DEP_1)
	v_mul_f32_e32 v6, v6, v7
	v_mul_f32_e32 v6, v8, v6
	global_store_b32 v[2:3], v6, off
	s_wait_alu 0xfffe
	v_add_co_u32 v2, vcc_lo, v2, s4
	s_wait_alu 0xfffd
	v_add_co_ci_u32_e64 v3, null, 0, v3, vcc_lo
	s_and_not1_b32 exec_lo, exec_lo, s3
	s_cbranch_execnz .LBB15_2
.LBB15_3:
	s_endpgm
	.section	.rodata,"a",@progbits
	.p2align	6, 0x0
	.amdhsa_kernel _ZN4vllm24swigluoai_and_mul_kernelIfTnPFT_RKS1_S3_ffEXadL_ZNS_17swigluoai_and_mulIfEES1_S3_S3_ffEEEEvPS1_PS2_iff
		.amdhsa_group_segment_fixed_size 0
		.amdhsa_private_segment_fixed_size 0
		.amdhsa_kernarg_size 288
		.amdhsa_user_sgpr_count 2
		.amdhsa_user_sgpr_dispatch_ptr 0
		.amdhsa_user_sgpr_queue_ptr 0
		.amdhsa_user_sgpr_kernarg_segment_ptr 1
		.amdhsa_user_sgpr_dispatch_id 0
		.amdhsa_user_sgpr_private_segment_size 0
		.amdhsa_wavefront_size32 1
		.amdhsa_uses_dynamic_stack 0
		.amdhsa_enable_private_segment 0
		.amdhsa_system_sgpr_workgroup_id_x 1
		.amdhsa_system_sgpr_workgroup_id_y 0
		.amdhsa_system_sgpr_workgroup_id_z 0
		.amdhsa_system_sgpr_workgroup_info 0
		.amdhsa_system_vgpr_workitem_id 0
		.amdhsa_next_free_vgpr 14
		.amdhsa_next_free_sgpr 16
		.amdhsa_reserve_vcc 1
		.amdhsa_float_round_mode_32 0
		.amdhsa_float_round_mode_16_64 0
		.amdhsa_float_denorm_mode_32 3
		.amdhsa_float_denorm_mode_16_64 3
		.amdhsa_fp16_overflow 0
		.amdhsa_workgroup_processor_mode 1
		.amdhsa_memory_ordered 1
		.amdhsa_forward_progress 1
		.amdhsa_inst_pref_size 5
		.amdhsa_round_robin_scheduling 0
		.amdhsa_exception_fp_ieee_invalid_op 0
		.amdhsa_exception_fp_denorm_src 0
		.amdhsa_exception_fp_ieee_div_zero 0
		.amdhsa_exception_fp_ieee_overflow 0
		.amdhsa_exception_fp_ieee_underflow 0
		.amdhsa_exception_fp_ieee_inexact 0
		.amdhsa_exception_int_div_zero 0
	.end_amdhsa_kernel
	.section	.text._ZN4vllm24swigluoai_and_mul_kernelIfTnPFT_RKS1_S3_ffEXadL_ZNS_17swigluoai_and_mulIfEES1_S3_S3_ffEEEEvPS1_PS2_iff,"axG",@progbits,_ZN4vllm24swigluoai_and_mul_kernelIfTnPFT_RKS1_S3_ffEXadL_ZNS_17swigluoai_and_mulIfEES1_S3_S3_ffEEEEvPS1_PS2_iff,comdat
.Lfunc_end15:
	.size	_ZN4vllm24swigluoai_and_mul_kernelIfTnPFT_RKS1_S3_ffEXadL_ZNS_17swigluoai_and_mulIfEES1_S3_S3_ffEEEEvPS1_PS2_iff, .Lfunc_end15-_ZN4vllm24swigluoai_and_mul_kernelIfTnPFT_RKS1_S3_ffEXadL_ZNS_17swigluoai_and_mulIfEES1_S3_S3_ffEEEEvPS1_PS2_iff
                                        ; -- End function
	.set _ZN4vllm24swigluoai_and_mul_kernelIfTnPFT_RKS1_S3_ffEXadL_ZNS_17swigluoai_and_mulIfEES1_S3_S3_ffEEEEvPS1_PS2_iff.num_vgpr, 14
	.set _ZN4vllm24swigluoai_and_mul_kernelIfTnPFT_RKS1_S3_ffEXadL_ZNS_17swigluoai_and_mulIfEES1_S3_S3_ffEEEEvPS1_PS2_iff.num_agpr, 0
	.set _ZN4vllm24swigluoai_and_mul_kernelIfTnPFT_RKS1_S3_ffEXadL_ZNS_17swigluoai_and_mulIfEES1_S3_S3_ffEEEEvPS1_PS2_iff.numbered_sgpr, 16
	.set _ZN4vllm24swigluoai_and_mul_kernelIfTnPFT_RKS1_S3_ffEXadL_ZNS_17swigluoai_and_mulIfEES1_S3_S3_ffEEEEvPS1_PS2_iff.num_named_barrier, 0
	.set _ZN4vllm24swigluoai_and_mul_kernelIfTnPFT_RKS1_S3_ffEXadL_ZNS_17swigluoai_and_mulIfEES1_S3_S3_ffEEEEvPS1_PS2_iff.private_seg_size, 0
	.set _ZN4vllm24swigluoai_and_mul_kernelIfTnPFT_RKS1_S3_ffEXadL_ZNS_17swigluoai_and_mulIfEES1_S3_S3_ffEEEEvPS1_PS2_iff.uses_vcc, 1
	.set _ZN4vllm24swigluoai_and_mul_kernelIfTnPFT_RKS1_S3_ffEXadL_ZNS_17swigluoai_and_mulIfEES1_S3_S3_ffEEEEvPS1_PS2_iff.uses_flat_scratch, 0
	.set _ZN4vllm24swigluoai_and_mul_kernelIfTnPFT_RKS1_S3_ffEXadL_ZNS_17swigluoai_and_mulIfEES1_S3_S3_ffEEEEvPS1_PS2_iff.has_dyn_sized_stack, 0
	.set _ZN4vllm24swigluoai_and_mul_kernelIfTnPFT_RKS1_S3_ffEXadL_ZNS_17swigluoai_and_mulIfEES1_S3_S3_ffEEEEvPS1_PS2_iff.has_recursion, 0
	.set _ZN4vllm24swigluoai_and_mul_kernelIfTnPFT_RKS1_S3_ffEXadL_ZNS_17swigluoai_and_mulIfEES1_S3_S3_ffEEEEvPS1_PS2_iff.has_indirect_call, 0
	.section	.AMDGPU.csdata,"",@progbits
; Kernel info:
; codeLenInByte = 608
; TotalNumSgprs: 18
; NumVgprs: 14
; ScratchSize: 0
; MemoryBound: 0
; FloatMode: 240
; IeeeMode: 1
; LDSByteSize: 0 bytes/workgroup (compile time only)
; SGPRBlocks: 0
; VGPRBlocks: 1
; NumSGPRsForWavesPerEU: 18
; NumVGPRsForWavesPerEU: 14
; Occupancy: 16
; WaveLimiterHint : 0
; COMPUTE_PGM_RSRC2:SCRATCH_EN: 0
; COMPUTE_PGM_RSRC2:USER_SGPR: 2
; COMPUTE_PGM_RSRC2:TRAP_HANDLER: 0
; COMPUTE_PGM_RSRC2:TGID_X_EN: 1
; COMPUTE_PGM_RSRC2:TGID_Y_EN: 0
; COMPUTE_PGM_RSRC2:TGID_Z_EN: 0
; COMPUTE_PGM_RSRC2:TIDIG_COMP_CNT: 0
	.section	.text._ZN4vllm24swigluoai_and_mul_kernelIN3c104HalfETnPFT_RKS3_S5_ffEXadL_ZNS_17swigluoai_and_mulIS2_EES3_S5_S5_ffEEEEvPS3_PS4_iff,"axG",@progbits,_ZN4vllm24swigluoai_and_mul_kernelIN3c104HalfETnPFT_RKS3_S5_ffEXadL_ZNS_17swigluoai_and_mulIS2_EES3_S5_S5_ffEEEEvPS3_PS4_iff,comdat
	.protected	_ZN4vllm24swigluoai_and_mul_kernelIN3c104HalfETnPFT_RKS3_S5_ffEXadL_ZNS_17swigluoai_and_mulIS2_EES3_S5_S5_ffEEEEvPS3_PS4_iff ; -- Begin function _ZN4vllm24swigluoai_and_mul_kernelIN3c104HalfETnPFT_RKS3_S5_ffEXadL_ZNS_17swigluoai_and_mulIS2_EES3_S5_S5_ffEEEEvPS3_PS4_iff
	.globl	_ZN4vllm24swigluoai_and_mul_kernelIN3c104HalfETnPFT_RKS3_S5_ffEXadL_ZNS_17swigluoai_and_mulIS2_EES3_S5_S5_ffEEEEvPS3_PS4_iff
	.p2align	8
	.type	_ZN4vllm24swigluoai_and_mul_kernelIN3c104HalfETnPFT_RKS3_S5_ffEXadL_ZNS_17swigluoai_and_mulIS2_EES3_S5_S5_ffEEEEvPS3_PS4_iff,@function
_ZN4vllm24swigluoai_and_mul_kernelIN3c104HalfETnPFT_RKS3_S5_ffEXadL_ZNS_17swigluoai_and_mulIS2_EES3_S5_S5_ffEEEEvPS3_PS4_iff: ; @_ZN4vllm24swigluoai_and_mul_kernelIN3c104HalfETnPFT_RKS3_S5_ffEXadL_ZNS_17swigluoai_and_mulIS2_EES3_S5_S5_ffEEEEvPS3_PS4_iff
; %bb.0:
	s_load_b96 s[8:10], s[0:1], 0x10
	s_mov_b32 s2, exec_lo
	s_wait_kmcnt 0x0
	v_cmpx_gt_i32_e64 s8, v0
	s_cbranch_execz .LBB16_8
; %bb.1:
	v_dual_mov_b32 v1, 0 :: v_dual_add_nc_u32 v2, 1, v0
	s_ashr_i32 s3, s8, 31
	s_clause 0x1
	s_load_b32 s11, s[0:1], 0x2c
	s_load_b128 s[4:7], s[0:1], 0x0
	v_mov_b32_e32 v3, v1
	s_mov_b32 s2, s8
	s_mov_b32 s14, ttmp9
	s_mov_b32 s15, 0
	s_mov_b32 s0, -1
	v_cmp_lt_i64_e32 vcc_lo, s[2:3], v[2:3]
	s_mul_u64 s[12:13], s[14:15], s[2:3]
	s_delay_alu instid0(SALU_CYCLE_1) | instskip(SKIP_2) | instid1(VALU_DEP_2)
	s_lshl_b64 s[16:17], s[12:13], 2
	v_cndmask_b32_e32 v2, s8, v2, vcc_lo
	v_cndmask_b32_e64 v3, s3, 0, vcc_lo
	v_sub_co_u32 v5, vcc_lo, v2, v0
	s_wait_alu 0xfffd
	s_delay_alu instid0(VALU_DEP_2)
	v_subrev_co_ci_u32_e64 v6, null, 0, v3, vcc_lo
	s_wait_kmcnt 0x0
	s_and_b32 s8, s11, 0xffff
	s_add_nc_u64 s[6:7], s[6:7], s[16:17]
	s_wait_alu 0xfffe
	s_cmp_eq_u32 s8, 1
	v_cmp_lt_u64_e32 vcc_lo, 1, v[5:6]
	s_cselect_b32 s1, -1, 0
	s_delay_alu instid0(SALU_CYCLE_1) | instskip(NEXT) | instid1(SALU_CYCLE_1)
	s_and_b32 s1, vcc_lo, s1
	s_and_saveexec_b32 s11, s1
	s_cbranch_execz .LBB16_5
; %bb.2:
	v_lshlrev_b64_e32 v[9:10], 1, v[0:1]
	s_lshl_b64 s[0:1], s[12:13], 1
	v_dual_mov_b32 v3, v1 :: v_dual_add_nc_u32 v2, 1, v0
	v_dual_mov_b32 v8, v6 :: v_dual_and_b32 v7, -2, v5
	s_add_nc_u64 s[0:1], s[4:5], s[0:1]
	s_xor_b32 s14, s10, 0x80000000
	v_add_co_u32 v9, vcc_lo, s0, v9
	v_mov_b32_e32 v4, v3
	s_wait_alu 0xfffd
	v_add_co_ci_u32_e64 v10, null, s1, v10, vcc_lo
	v_dual_mov_b32 v12, v8 :: v_dual_mov_b32 v11, v7
	v_mov_b32_e32 v3, v2
	v_mov_b32_e32 v2, v1
	;; [unrolled: 1-line block ×3, first 2 shown]
	s_mov_b32 s16, s14
	s_mov_b32 s17, s10
	;; [unrolled: 1-line block ×4, first 2 shown]
.LBB16_3:                               ; =>This Inner Loop Header: Depth=1
	v_lshlrev_b64_e32 v[13:14], 2, v[1:2]
	v_lshlrev_b64_e32 v[15:16], 2, v[3:4]
	s_delay_alu instid0(VALU_DEP_2) | instskip(SKIP_1) | instid1(VALU_DEP_3)
	v_add_co_u32 v13, vcc_lo, s6, v13
	s_wait_alu 0xfffd
	v_add_co_ci_u32_e64 v14, null, s7, v14, vcc_lo
	s_delay_alu instid0(VALU_DEP_3)
	v_add_co_u32 v15, vcc_lo, s6, v15
	s_wait_alu 0xfffd
	v_add_co_ci_u32_e64 v16, null, s7, v16, vcc_lo
	s_clause 0x1
	global_load_b32 v13, v[13:14], off
	global_load_b32 v14, v[15:16], off
	v_add_co_u32 v3, vcc_lo, v3, 2
	s_wait_alu 0xfffd
	v_add_co_ci_u32_e64 v4, null, 0, v4, vcc_lo
	v_add_co_u32 v11, vcc_lo, v11, -2
	s_wait_alu 0xfffd
	v_add_co_ci_u32_e64 v12, null, -1, v12, vcc_lo
	v_add_co_u32 v1, vcc_lo, v1, 2
	s_wait_alu 0xfffd
	v_add_co_ci_u32_e64 v2, null, 0, v2, vcc_lo
	s_delay_alu instid0(VALU_DEP_3)
	v_cmp_eq_u64_e64 s0, 0, v[11:12]
	s_or_b32 s15, s0, s15
	s_wait_loadcnt 0x1
	v_lshrrev_b32_e32 v15, 16, v13
	v_cvt_f32_f16_e32 v13, v13
	s_wait_loadcnt 0x0
	v_lshrrev_b32_e32 v16, 16, v14
	v_cvt_f32_f16_e32 v14, v14
	v_cvt_f32_f16_e32 v15, v15
	v_cmp_lt_f32_e32 vcc_lo, s17, v13
	s_delay_alu instid0(VALU_DEP_4) | instskip(NEXT) | instid1(VALU_DEP_3)
	v_cvt_f32_f16_e32 v16, v16
	v_cmp_gt_f32_e64 s1, s14, v15
	s_wait_alu 0xfffd
	v_cndmask_b32_e64 v13, v13, s17, vcc_lo
	v_cmp_lt_f32_e32 vcc_lo, s18, v14
	s_wait_alu 0xf1ff
	v_cndmask_b32_e64 v19, v15, s14, s1
	v_cmp_lt_f32_e64 s1, s17, v15
	s_wait_alu 0xfffd
	v_cndmask_b32_e64 v14, v14, s18, vcc_lo
	v_cmp_gt_f32_e32 vcc_lo, s16, v16
	s_wait_alu 0xf1ff
	v_cndmask_b32_e64 v19, v19, s17, s1
	s_delay_alu instid0(VALU_DEP_3)
	v_mul_f32_e64 v18, s9, -v14
	s_wait_alu 0xfffd
	v_cndmask_b32_e64 v17, v16, s16, vcc_lo
	v_cmp_lt_f32_e32 vcc_lo, s18, v16
	v_mul_f32_e64 v16, s19, -v13
	v_mul_f32_e32 v20, 0x3fb8aa3b, v18
	s_wait_alu 0xfffd
	v_cndmask_b32_e64 v17, v17, s18, vcc_lo
	s_delay_alu instid0(VALU_DEP_3)
	v_mul_f32_e32 v15, 0x3fb8aa3b, v16
	v_cmp_ngt_f32_e32 vcc_lo, 0xc2ce8ed0, v18
	v_fma_f32 v23, 0x3fb8aa3b, v18, -v20
	v_rndne_f32_e32 v24, v20
	v_add_f32_e32 v17, 1.0, v17
	v_fma_f32 v21, 0x3fb8aa3b, v16, -v15
	v_rndne_f32_e32 v22, v15
	s_delay_alu instid0(VALU_DEP_4) | instskip(SKIP_1) | instid1(VALU_DEP_4)
	v_dual_fmac_f32 v23, 0x32a5705f, v18 :: v_dual_sub_f32 v20, v20, v24
	v_cvt_i32_f32_e32 v24, v24
	v_fmac_f32_e32 v21, 0x32a5705f, v16
	v_cmp_ngt_f32_e64 s1, 0xc2ce8ed0, v16
	s_delay_alu instid0(VALU_DEP_4) | instskip(NEXT) | instid1(VALU_DEP_1)
	v_add_f32_e32 v20, v20, v23
	v_exp_f32_e32 v20, v20
	s_delay_alu instid0(TRANS32_DEP_1) | instskip(SKIP_1) | instid1(VALU_DEP_1)
	v_ldexp_f32 v20, v20, v24
	s_wait_alu 0xfffd
	v_dual_add_f32 v19, 1.0, v19 :: v_dual_cndmask_b32 v20, 0, v20
	v_cmp_nlt_f32_e32 vcc_lo, 0x42b17218, v18
	v_sub_f32_e32 v15, v15, v22
	v_cvt_i32_f32_e32 v22, v22
	s_delay_alu instid0(VALU_DEP_2) | instskip(NEXT) | instid1(VALU_DEP_1)
	v_add_f32_e32 v15, v15, v21
	v_exp_f32_e32 v15, v15
	s_delay_alu instid0(TRANS32_DEP_1) | instskip(SKIP_1) | instid1(VALU_DEP_1)
	v_ldexp_f32 v15, v15, v22
	s_wait_alu 0xf1ff
	v_cndmask_b32_e64 v15, 0, v15, s1
	v_cmp_nlt_f32_e64 s1, 0x42b17218, v16
	s_wait_alu 0xfffd
	v_cndmask_b32_e32 v16, 0x7f800000, v20, vcc_lo
	s_wait_alu 0xf1ff
	s_delay_alu instid0(VALU_DEP_2) | instskip(NEXT) | instid1(VALU_DEP_2)
	v_cndmask_b32_e64 v15, 0x7f800000, v15, s1
	v_add_f32_e32 v16, 1.0, v16
	s_delay_alu instid0(VALU_DEP_1) | instskip(SKIP_1) | instid1(VALU_DEP_2)
	v_div_scale_f32 v21, null, v16, v16, 1.0
	v_div_scale_f32 v22, s1, 1.0, v16, 1.0
	v_rcp_f32_e32 v24, v21
	s_delay_alu instid0(TRANS32_DEP_1) | instskip(NEXT) | instid1(VALU_DEP_1)
	v_fma_f32 v26, -v21, v24, 1.0
	v_dual_fmac_f32 v24, v26, v24 :: v_dual_add_f32 v15, 1.0, v15
	s_delay_alu instid0(VALU_DEP_1) | instskip(NEXT) | instid1(VALU_DEP_2)
	v_mul_f32_e32 v26, v22, v24
	v_div_scale_f32 v18, null, v15, v15, 1.0
	v_div_scale_f32 v20, vcc_lo, 1.0, v15, 1.0
	s_delay_alu instid0(VALU_DEP_3) | instskip(NEXT) | instid1(VALU_DEP_3)
	v_fma_f32 v28, -v21, v26, v22
	v_rcp_f32_e32 v23, v18
	s_delay_alu instid0(VALU_DEP_1) | instskip(NEXT) | instid1(TRANS32_DEP_1)
	v_fmac_f32_e32 v26, v28, v24
	v_fma_f32 v25, -v18, v23, 1.0
	s_delay_alu instid0(VALU_DEP_1) | instskip(NEXT) | instid1(VALU_DEP_1)
	v_fmac_f32_e32 v23, v25, v23
	v_mul_f32_e32 v25, v20, v23
	s_delay_alu instid0(VALU_DEP_1) | instskip(NEXT) | instid1(VALU_DEP_1)
	v_fma_f32 v27, -v18, v25, v20
	v_fmac_f32_e32 v25, v27, v23
	s_delay_alu instid0(VALU_DEP_1) | instskip(SKIP_2) | instid1(VALU_DEP_2)
	v_fma_f32 v18, -v18, v25, v20
	v_fma_f32 v20, -v21, v26, v22
	s_wait_alu 0xfffd
	v_div_fmas_f32 v18, v18, v23, v25
	s_mov_b32 vcc_lo, s1
	s_wait_alu 0xfffe
	v_div_fmas_f32 v20, v20, v24, v26
	s_delay_alu instid0(VALU_DEP_2) | instskip(NEXT) | instid1(VALU_DEP_2)
	v_div_fixup_f32 v15, v18, v15, 1.0
	v_div_fixup_f32 v16, v20, v16, 1.0
	s_delay_alu instid0(VALU_DEP_1) | instskip(NEXT) | instid1(VALU_DEP_1)
	v_dual_mul_f32 v13, v13, v15 :: v_dual_mul_f32 v14, v14, v16
	v_fma_mixlo_f16 v13, v19, v13, 0
	s_delay_alu instid0(VALU_DEP_1)
	v_fma_mixhi_f16 v13, v17, v14, 0
	global_store_b32 v[9:10], v13, off
	v_add_co_u32 v9, vcc_lo, v9, 4
	s_wait_alu 0xfffd
	v_add_co_ci_u32_e64 v10, null, 0, v10, vcc_lo
	s_and_not1_b32 exec_lo, exec_lo, s15
	s_cbranch_execnz .LBB16_3
; %bb.4:
	s_or_b32 exec_lo, exec_lo, s15
	v_cmp_ne_u64_e32 vcc_lo, v[5:6], v[7:8]
	v_add_co_u32 v0, s0, v7, v0
	s_wait_alu 0xf1ff
	v_add_co_ci_u32_e64 v1, null, 0, v8, s0
	s_or_not1_b32 s0, vcc_lo, exec_lo
.LBB16_5:
	s_or_b32 exec_lo, exec_lo, s11
	s_wait_alu 0xfffe
	s_and_b32 exec_lo, exec_lo, s0
	s_cbranch_execz .LBB16_8
; %bb.6:
	v_lshlrev_b64_e32 v[2:3], 2, v[0:1]
	v_lshlrev_b64_e32 v[4:5], 1, v[0:1]
	s_lshl_b64 s[0:1], s[12:13], 1
	s_wait_alu 0xfffe
	s_add_nc_u64 s[0:1], s[4:5], s[0:1]
	s_mov_b32 s4, 0
	v_add_co_u32 v6, vcc_lo, s6, v2
	s_wait_alu 0xfffd
	v_add_co_ci_u32_e64 v7, null, s7, v3, vcc_lo
	s_wait_alu 0xfffe
	v_add_co_u32 v2, vcc_lo, s0, v4
	s_wait_alu 0xfffd
	v_add_co_ci_u32_e64 v3, null, s1, v5, vcc_lo
	v_add_co_u32 v4, vcc_lo, v6, 2
	s_wait_alu 0xfffd
	v_add_co_ci_u32_e64 v5, null, 0, v7, vcc_lo
	s_lshl_b32 s5, s8, 1
	s_lshl_b32 s6, s8, 2
.LBB16_7:                               ; =>This Inner Loop Header: Depth=1
	global_load_b32 v6, v[4:5], off offset:-2
	v_add_co_u32 v0, vcc_lo, v0, s8
	s_wait_alu 0xfffd
	v_add_co_ci_u32_e64 v1, null, 0, v1, vcc_lo
	s_wait_alu 0xfffe
	v_add_co_u32 v4, vcc_lo, v4, s6
	s_wait_alu 0xfffd
	v_add_co_ci_u32_e64 v5, null, 0, v5, vcc_lo
	v_cmp_le_i64_e64 s0, s[2:3], v[0:1]
	s_or_b32 s4, s0, s4
	s_wait_loadcnt 0x0
	v_cvt_f32_f16_e32 v7, v6
	v_lshrrev_b32_e32 v6, 16, v6
	s_delay_alu instid0(VALU_DEP_2) | instskip(NEXT) | instid1(VALU_DEP_2)
	v_cmp_lt_f32_e32 vcc_lo, s10, v7
	v_cvt_f32_f16_e32 v6, v6
	s_wait_alu 0xfffd
	v_cndmask_b32_e64 v7, v7, s10, vcc_lo
	s_delay_alu instid0(VALU_DEP_2) | instskip(SKIP_1) | instid1(VALU_DEP_3)
	v_cmp_lt_f32_e64 s1, v6, -s10
	v_cmp_lt_f32_e32 vcc_lo, s10, v6
	v_mul_f32_e64 v8, s9, -v7
	s_wait_alu 0xf1ff
	s_delay_alu instid0(VALU_DEP_3) | instskip(NEXT) | instid1(VALU_DEP_2)
	v_cndmask_b32_e64 v9, v6, -s10, s1
	v_cmp_ngt_f32_e64 s1, 0xc2ce8ed0, v8
	s_wait_alu 0xfffd
	s_delay_alu instid0(VALU_DEP_2) | instskip(NEXT) | instid1(VALU_DEP_1)
	v_cndmask_b32_e64 v9, v9, s10, vcc_lo
	v_dual_mul_f32 v6, 0x3fb8aa3b, v8 :: v_dual_add_f32 v9, 1.0, v9
	s_delay_alu instid0(VALU_DEP_1) | instskip(SKIP_1) | instid1(VALU_DEP_2)
	v_fma_f32 v10, 0x3fb8aa3b, v8, -v6
	v_rndne_f32_e32 v11, v6
	v_fmac_f32_e32 v10, 0x32a5705f, v8
	s_delay_alu instid0(VALU_DEP_2) | instskip(NEXT) | instid1(VALU_DEP_1)
	v_sub_f32_e32 v6, v6, v11
	v_add_f32_e32 v6, v6, v10
	v_cvt_i32_f32_e32 v10, v11
	s_delay_alu instid0(VALU_DEP_2) | instskip(NEXT) | instid1(TRANS32_DEP_1)
	v_exp_f32_e32 v6, v6
	v_ldexp_f32 v6, v6, v10
	s_wait_alu 0xf1ff
	s_delay_alu instid0(VALU_DEP_1) | instskip(SKIP_2) | instid1(VALU_DEP_1)
	v_cndmask_b32_e64 v6, 0, v6, s1
	v_cmp_nlt_f32_e64 s1, 0x42b17218, v8
	s_wait_alu 0xf1ff
	v_cndmask_b32_e64 v6, 0x7f800000, v6, s1
	s_delay_alu instid0(VALU_DEP_1) | instskip(NEXT) | instid1(VALU_DEP_1)
	v_add_f32_e32 v6, 1.0, v6
	v_div_scale_f32 v8, null, v6, v6, 1.0
	v_div_scale_f32 v11, vcc_lo, 1.0, v6, 1.0
	s_delay_alu instid0(VALU_DEP_2) | instskip(NEXT) | instid1(TRANS32_DEP_1)
	v_rcp_f32_e32 v10, v8
	v_fma_f32 v12, -v8, v10, 1.0
	s_delay_alu instid0(VALU_DEP_1) | instskip(NEXT) | instid1(VALU_DEP_1)
	v_fmac_f32_e32 v10, v12, v10
	v_mul_f32_e32 v12, v11, v10
	s_delay_alu instid0(VALU_DEP_1) | instskip(NEXT) | instid1(VALU_DEP_1)
	v_fma_f32 v13, -v8, v12, v11
	v_fmac_f32_e32 v12, v13, v10
	s_delay_alu instid0(VALU_DEP_1) | instskip(SKIP_1) | instid1(VALU_DEP_1)
	v_fma_f32 v8, -v8, v12, v11
	s_wait_alu 0xfffd
	v_div_fmas_f32 v8, v8, v10, v12
	s_delay_alu instid0(VALU_DEP_1) | instskip(NEXT) | instid1(VALU_DEP_1)
	v_div_fixup_f32 v6, v8, v6, 1.0
	v_mul_f32_e32 v6, v7, v6
	s_delay_alu instid0(VALU_DEP_1)
	v_fma_mixlo_f16 v6, v9, v6, 0
	global_store_b16 v[2:3], v6, off
	v_add_co_u32 v2, vcc_lo, v2, s5
	s_wait_alu 0xfffd
	v_add_co_ci_u32_e64 v3, null, 0, v3, vcc_lo
	s_wait_alu 0xfffe
	s_and_not1_b32 exec_lo, exec_lo, s4
	s_cbranch_execnz .LBB16_7
.LBB16_8:
	s_endpgm
	.section	.rodata,"a",@progbits
	.p2align	6, 0x0
	.amdhsa_kernel _ZN4vllm24swigluoai_and_mul_kernelIN3c104HalfETnPFT_RKS3_S5_ffEXadL_ZNS_17swigluoai_and_mulIS2_EES3_S5_S5_ffEEEEvPS3_PS4_iff
		.amdhsa_group_segment_fixed_size 0
		.amdhsa_private_segment_fixed_size 0
		.amdhsa_kernarg_size 288
		.amdhsa_user_sgpr_count 2
		.amdhsa_user_sgpr_dispatch_ptr 0
		.amdhsa_user_sgpr_queue_ptr 0
		.amdhsa_user_sgpr_kernarg_segment_ptr 1
		.amdhsa_user_sgpr_dispatch_id 0
		.amdhsa_user_sgpr_private_segment_size 0
		.amdhsa_wavefront_size32 1
		.amdhsa_uses_dynamic_stack 0
		.amdhsa_enable_private_segment 0
		.amdhsa_system_sgpr_workgroup_id_x 1
		.amdhsa_system_sgpr_workgroup_id_y 0
		.amdhsa_system_sgpr_workgroup_id_z 0
		.amdhsa_system_sgpr_workgroup_info 0
		.amdhsa_system_vgpr_workitem_id 0
		.amdhsa_next_free_vgpr 29
		.amdhsa_next_free_sgpr 20
		.amdhsa_reserve_vcc 1
		.amdhsa_float_round_mode_32 0
		.amdhsa_float_round_mode_16_64 0
		.amdhsa_float_denorm_mode_32 3
		.amdhsa_float_denorm_mode_16_64 3
		.amdhsa_fp16_overflow 0
		.amdhsa_workgroup_processor_mode 1
		.amdhsa_memory_ordered 1
		.amdhsa_forward_progress 1
		.amdhsa_inst_pref_size 14
		.amdhsa_round_robin_scheduling 0
		.amdhsa_exception_fp_ieee_invalid_op 0
		.amdhsa_exception_fp_denorm_src 0
		.amdhsa_exception_fp_ieee_div_zero 0
		.amdhsa_exception_fp_ieee_overflow 0
		.amdhsa_exception_fp_ieee_underflow 0
		.amdhsa_exception_fp_ieee_inexact 0
		.amdhsa_exception_int_div_zero 0
	.end_amdhsa_kernel
	.section	.text._ZN4vllm24swigluoai_and_mul_kernelIN3c104HalfETnPFT_RKS3_S5_ffEXadL_ZNS_17swigluoai_and_mulIS2_EES3_S5_S5_ffEEEEvPS3_PS4_iff,"axG",@progbits,_ZN4vllm24swigluoai_and_mul_kernelIN3c104HalfETnPFT_RKS3_S5_ffEXadL_ZNS_17swigluoai_and_mulIS2_EES3_S5_S5_ffEEEEvPS3_PS4_iff,comdat
.Lfunc_end16:
	.size	_ZN4vllm24swigluoai_and_mul_kernelIN3c104HalfETnPFT_RKS3_S5_ffEXadL_ZNS_17swigluoai_and_mulIS2_EES3_S5_S5_ffEEEEvPS3_PS4_iff, .Lfunc_end16-_ZN4vllm24swigluoai_and_mul_kernelIN3c104HalfETnPFT_RKS3_S5_ffEXadL_ZNS_17swigluoai_and_mulIS2_EES3_S5_S5_ffEEEEvPS3_PS4_iff
                                        ; -- End function
	.set _ZN4vllm24swigluoai_and_mul_kernelIN3c104HalfETnPFT_RKS3_S5_ffEXadL_ZNS_17swigluoai_and_mulIS2_EES3_S5_S5_ffEEEEvPS3_PS4_iff.num_vgpr, 29
	.set _ZN4vllm24swigluoai_and_mul_kernelIN3c104HalfETnPFT_RKS3_S5_ffEXadL_ZNS_17swigluoai_and_mulIS2_EES3_S5_S5_ffEEEEvPS3_PS4_iff.num_agpr, 0
	.set _ZN4vllm24swigluoai_and_mul_kernelIN3c104HalfETnPFT_RKS3_S5_ffEXadL_ZNS_17swigluoai_and_mulIS2_EES3_S5_S5_ffEEEEvPS3_PS4_iff.numbered_sgpr, 20
	.set _ZN4vllm24swigluoai_and_mul_kernelIN3c104HalfETnPFT_RKS3_S5_ffEXadL_ZNS_17swigluoai_and_mulIS2_EES3_S5_S5_ffEEEEvPS3_PS4_iff.num_named_barrier, 0
	.set _ZN4vllm24swigluoai_and_mul_kernelIN3c104HalfETnPFT_RKS3_S5_ffEXadL_ZNS_17swigluoai_and_mulIS2_EES3_S5_S5_ffEEEEvPS3_PS4_iff.private_seg_size, 0
	.set _ZN4vllm24swigluoai_and_mul_kernelIN3c104HalfETnPFT_RKS3_S5_ffEXadL_ZNS_17swigluoai_and_mulIS2_EES3_S5_S5_ffEEEEvPS3_PS4_iff.uses_vcc, 1
	.set _ZN4vllm24swigluoai_and_mul_kernelIN3c104HalfETnPFT_RKS3_S5_ffEXadL_ZNS_17swigluoai_and_mulIS2_EES3_S5_S5_ffEEEEvPS3_PS4_iff.uses_flat_scratch, 0
	.set _ZN4vllm24swigluoai_and_mul_kernelIN3c104HalfETnPFT_RKS3_S5_ffEXadL_ZNS_17swigluoai_and_mulIS2_EES3_S5_S5_ffEEEEvPS3_PS4_iff.has_dyn_sized_stack, 0
	.set _ZN4vllm24swigluoai_and_mul_kernelIN3c104HalfETnPFT_RKS3_S5_ffEXadL_ZNS_17swigluoai_and_mulIS2_EES3_S5_S5_ffEEEEvPS3_PS4_iff.has_recursion, 0
	.set _ZN4vllm24swigluoai_and_mul_kernelIN3c104HalfETnPFT_RKS3_S5_ffEXadL_ZNS_17swigluoai_and_mulIS2_EES3_S5_S5_ffEEEEvPS3_PS4_iff.has_indirect_call, 0
	.section	.AMDGPU.csdata,"",@progbits
; Kernel info:
; codeLenInByte = 1704
; TotalNumSgprs: 22
; NumVgprs: 29
; ScratchSize: 0
; MemoryBound: 0
; FloatMode: 240
; IeeeMode: 1
; LDSByteSize: 0 bytes/workgroup (compile time only)
; SGPRBlocks: 0
; VGPRBlocks: 3
; NumSGPRsForWavesPerEU: 22
; NumVGPRsForWavesPerEU: 29
; Occupancy: 16
; WaveLimiterHint : 0
; COMPUTE_PGM_RSRC2:SCRATCH_EN: 0
; COMPUTE_PGM_RSRC2:USER_SGPR: 2
; COMPUTE_PGM_RSRC2:TRAP_HANDLER: 0
; COMPUTE_PGM_RSRC2:TGID_X_EN: 1
; COMPUTE_PGM_RSRC2:TGID_Y_EN: 0
; COMPUTE_PGM_RSRC2:TGID_Z_EN: 0
; COMPUTE_PGM_RSRC2:TIDIG_COMP_CNT: 0
	.section	.text._ZN4vllm24swigluoai_and_mul_kernelIN3c108BFloat16ETnPFT_RKS3_S5_ffEXadL_ZNS_17swigluoai_and_mulIS2_EES3_S5_S5_ffEEEEvPS3_PS4_iff,"axG",@progbits,_ZN4vllm24swigluoai_and_mul_kernelIN3c108BFloat16ETnPFT_RKS3_S5_ffEXadL_ZNS_17swigluoai_and_mulIS2_EES3_S5_S5_ffEEEEvPS3_PS4_iff,comdat
	.protected	_ZN4vllm24swigluoai_and_mul_kernelIN3c108BFloat16ETnPFT_RKS3_S5_ffEXadL_ZNS_17swigluoai_and_mulIS2_EES3_S5_S5_ffEEEEvPS3_PS4_iff ; -- Begin function _ZN4vllm24swigluoai_and_mul_kernelIN3c108BFloat16ETnPFT_RKS3_S5_ffEXadL_ZNS_17swigluoai_and_mulIS2_EES3_S5_S5_ffEEEEvPS3_PS4_iff
	.globl	_ZN4vllm24swigluoai_and_mul_kernelIN3c108BFloat16ETnPFT_RKS3_S5_ffEXadL_ZNS_17swigluoai_and_mulIS2_EES3_S5_S5_ffEEEEvPS3_PS4_iff
	.p2align	8
	.type	_ZN4vllm24swigluoai_and_mul_kernelIN3c108BFloat16ETnPFT_RKS3_S5_ffEXadL_ZNS_17swigluoai_and_mulIS2_EES3_S5_S5_ffEEEEvPS3_PS4_iff,@function
_ZN4vllm24swigluoai_and_mul_kernelIN3c108BFloat16ETnPFT_RKS3_S5_ffEXadL_ZNS_17swigluoai_and_mulIS2_EES3_S5_S5_ffEEEEvPS3_PS4_iff: ; @_ZN4vllm24swigluoai_and_mul_kernelIN3c108BFloat16ETnPFT_RKS3_S5_ffEXadL_ZNS_17swigluoai_and_mulIS2_EES3_S5_S5_ffEEEEvPS3_PS4_iff
; %bb.0:
	s_load_b96 s[4:6], s[0:1], 0x10
	s_mov_b32 s2, exec_lo
	s_wait_kmcnt 0x0
	v_cmpx_gt_i32_e64 s4, v0
	s_cbranch_execz .LBB17_10
; %bb.1:
	v_dual_mov_b32 v1, 0 :: v_dual_add_nc_u32 v2, 1, v0
	s_ashr_i32 s3, s4, 31
	s_clause 0x1
	s_load_b32 s7, s[0:1], 0x2c
	s_load_b64 s[14:15], s[0:1], 0x8
	v_mov_b32_e32 v3, v1
	s_mov_b32 s2, s4
	s_mov_b32 s8, ttmp9
	s_mov_b32 s9, 0
                                        ; implicit-def: $sgpr18_sgpr19
	s_delay_alu instid0(SALU_CYCLE_1) | instskip(SKIP_4) | instid1(VALU_DEP_2)
	s_mul_u64 s[10:11], s[8:9], s[2:3]
	v_cmp_lt_i64_e32 vcc_lo, s[2:3], v[2:3]
	s_lshl_b64 s[16:17], s[10:11], 2
	v_cndmask_b32_e32 v2, s4, v2, vcc_lo
	v_cndmask_b32_e64 v3, s3, 0, vcc_lo
	v_sub_co_u32 v5, vcc_lo, v2, v0
	s_wait_alu 0xfffd
	s_delay_alu instid0(VALU_DEP_2) | instskip(SKIP_2) | instid1(SALU_CYCLE_1)
	v_subrev_co_ci_u32_e64 v6, null, 0, v3, vcc_lo
	s_wait_kmcnt 0x0
	s_and_b32 s7, s7, 0xffff
	s_cmp_lg_u32 s7, 1
	s_delay_alu instid0(VALU_DEP_1)
	v_cmp_gt_u64_e32 vcc_lo, 2, v[5:6]
	v_mov_b32_e32 v8, v6
	s_cselect_b32 s4, -1, 0
	s_wait_alu 0xfffe
	s_or_b32 s4, vcc_lo, s4
	s_wait_alu 0xfffe
	s_and_saveexec_b32 s8, s4
	s_delay_alu instid0(SALU_CYCLE_1)
	s_xor_b32 s4, exec_lo, s8
; %bb.2:
	s_mov_b32 s9, exec_lo
	s_mov_b32 s18, s6
                                        ; implicit-def: $vgpr5_vgpr6
                                        ; implicit-def: $vgpr8
; %bb.3:
	s_wait_alu 0xfffe
	s_or_saveexec_b32 s8, s4
	s_load_b64 s[12:13], s[0:1], 0x0
	v_dual_mov_b32 v2, s18 :: v_dual_mov_b32 v3, s19
	s_add_nc_u64 s[14:15], s[14:15], s[16:17]
	s_xor_b32 exec_lo, exec_lo, s8
	s_cbranch_execz .LBB17_7
; %bb.4:
	v_lshlrev_b64_e32 v[9:10], 1, v[0:1]
	s_lshl_b64 s[0:1], s[10:11], 1
	v_dual_mov_b32 v3, 0 :: v_dual_add_nc_u32 v2, 1, v0
	v_and_b32_e32 v7, -2, v5
	s_wait_kmcnt 0x0
	s_add_nc_u64 s[0:1], s[12:13], s[0:1]
	s_xor_b32 s16, s6, 0x80000000
	v_add_co_u32 v9, vcc_lo, s0, v9
	v_mov_b32_e32 v4, v3
	s_wait_alu 0xfffd
	v_add_co_ci_u32_e64 v10, null, s1, v10, vcc_lo
	v_dual_mov_b32 v12, v8 :: v_dual_mov_b32 v11, v7
	v_mov_b32_e32 v3, v2
	v_mov_b32_e32 v2, v1
	;; [unrolled: 1-line block ×3, first 2 shown]
	s_mov_b32 s17, s16
	s_mov_b32 s4, s6
	;; [unrolled: 1-line block ×6, first 2 shown]
.LBB17_5:                               ; =>This Inner Loop Header: Depth=1
	v_lshlrev_b64_e32 v[13:14], 2, v[1:2]
	v_lshlrev_b64_e32 v[15:16], 2, v[3:4]
	s_delay_alu instid0(VALU_DEP_2) | instskip(SKIP_1) | instid1(VALU_DEP_3)
	v_add_co_u32 v13, vcc_lo, s14, v13
	s_wait_alu 0xfffd
	v_add_co_ci_u32_e64 v14, null, s15, v14, vcc_lo
	s_delay_alu instid0(VALU_DEP_3)
	v_add_co_u32 v15, vcc_lo, s14, v15
	s_wait_alu 0xfffd
	v_add_co_ci_u32_e64 v16, null, s15, v16, vcc_lo
	s_clause 0x1
	global_load_b32 v13, v[13:14], off
	global_load_b32 v14, v[15:16], off
	v_add_co_u32 v3, vcc_lo, v3, 2
	s_wait_alu 0xfffd
	v_add_co_ci_u32_e64 v4, null, 0, v4, vcc_lo
	v_add_co_u32 v11, vcc_lo, v11, -2
	s_wait_alu 0xfffd
	v_add_co_ci_u32_e64 v12, null, -1, v12, vcc_lo
	v_add_co_u32 v1, vcc_lo, v1, 2
	s_wait_alu 0xfffd
	v_add_co_ci_u32_e64 v2, null, 0, v2, vcc_lo
	s_delay_alu instid0(VALU_DEP_3)
	v_cmp_eq_u64_e64 s0, 0, v[11:12]
	s_or_b32 s20, s0, s20
	s_wait_loadcnt 0x1
	v_lshlrev_b32_e32 v16, 16, v13
	s_wait_loadcnt 0x0
	v_and_b32_e32 v15, 0xffff0000, v14
	v_lshlrev_b32_e32 v14, 16, v14
	s_wait_alu 0xfffe
	v_cmp_lt_f32_e64 s1, s18, v16
	s_delay_alu instid0(VALU_DEP_3)
	v_cmp_gt_f32_e32 vcc_lo, s17, v15
	s_wait_alu 0xfffd
	v_cndmask_b32_e64 v17, v15, s17, vcc_lo
	v_cmp_lt_f32_e32 vcc_lo, s19, v15
	s_wait_alu 0xf1ff
	v_cndmask_b32_e64 v15, v16, s18, s1
	v_cmp_lt_f32_e64 s1, s19, v14
	s_wait_alu 0xfffd
	v_cndmask_b32_e64 v17, v17, s19, vcc_lo
	s_wait_alu 0xf1ff
	s_delay_alu instid0(VALU_DEP_2) | instskip(NEXT) | instid1(VALU_DEP_2)
	v_cndmask_b32_e64 v14, v14, s19, s1
	v_add_f32_e32 v17, 1.0, v17
	s_delay_alu instid0(VALU_DEP_2) | instskip(NEXT) | instid1(VALU_DEP_1)
	v_mul_f32_e64 v18, s5, -v14
	v_mul_f32_e32 v20, 0x3fb8aa3b, v18
	v_cmp_ngt_f32_e32 vcc_lo, 0xc2ce8ed0, v18
	s_delay_alu instid0(VALU_DEP_2) | instskip(SKIP_2) | instid1(VALU_DEP_3)
	v_rndne_f32_e32 v24, v20
	v_and_b32_e32 v13, 0xffff0000, v13
	v_fma_f32 v23, 0x3fb8aa3b, v18, -v20
	v_sub_f32_e32 v20, v20, v24
	s_delay_alu instid0(VALU_DEP_3) | instskip(NEXT) | instid1(VALU_DEP_3)
	v_cmp_gt_f32_e64 s1, s16, v13
	v_fmac_f32_e32 v23, 0x32a5705f, v18
	s_wait_alu 0xf1ff
	s_delay_alu instid0(VALU_DEP_2) | instskip(SKIP_4) | instid1(VALU_DEP_3)
	v_cndmask_b32_e64 v16, v13, s16, s1
	v_cmp_lt_f32_e64 s1, s18, v13
	v_mul_f32_e64 v13, s21, -v15
	v_add_f32_e32 v20, v20, v23
	s_wait_alu 0xf1ff
	v_cndmask_b32_e64 v16, v16, s18, s1
	s_delay_alu instid0(VALU_DEP_3) | instskip(SKIP_2) | instid1(VALU_DEP_3)
	v_mul_f32_e32 v19, 0x3fb8aa3b, v13
	v_cmp_ngt_f32_e64 s1, 0xc2ce8ed0, v13
	v_exp_f32_e32 v20, v20
	v_add_f32_e32 v16, 1.0, v16
	s_delay_alu instid0(VALU_DEP_3) | instskip(SKIP_1) | instid1(VALU_DEP_2)
	v_fma_f32 v21, 0x3fb8aa3b, v13, -v19
	v_rndne_f32_e32 v22, v19
	v_fmac_f32_e32 v21, 0x32a5705f, v13
	s_delay_alu instid0(VALU_DEP_2) | instskip(SKIP_1) | instid1(VALU_DEP_2)
	v_sub_f32_e32 v19, v19, v22
	v_cvt_i32_f32_e32 v22, v22
	v_add_f32_e32 v19, v19, v21
	v_cvt_i32_f32_e32 v21, v24
	s_delay_alu instid0(TRANS32_DEP_1) | instid1(VALU_DEP_1)
	v_ldexp_f32 v20, v20, v21
	s_wait_alu 0xfffd
	s_delay_alu instid0(VALU_DEP_1) | instskip(SKIP_2) | instid1(VALU_DEP_2)
	v_cndmask_b32_e32 v20, 0, v20, vcc_lo
	v_cmp_nlt_f32_e32 vcc_lo, 0x42b17218, v18
	s_wait_alu 0xfffd
	v_cndmask_b32_e32 v18, 0x7f800000, v20, vcc_lo
	v_exp_f32_e32 v19, v19
	s_delay_alu instid0(VALU_DEP_1) | instskip(NEXT) | instid1(VALU_DEP_1)
	v_add_f32_e32 v18, 1.0, v18
	v_div_scale_f32 v20, null, v18, v18, 1.0
	s_delay_alu instid0(TRANS32_DEP_1) | instskip(NEXT) | instid1(VALU_DEP_2)
	v_ldexp_f32 v19, v19, v22
	v_rcp_f32_e32 v23, v20
	s_wait_alu 0xf1ff
	s_delay_alu instid0(VALU_DEP_1) | instskip(SKIP_2) | instid1(VALU_DEP_1)
	v_cndmask_b32_e64 v19, 0, v19, s1
	v_cmp_nlt_f32_e64 s1, 0x42b17218, v13
	s_wait_alu 0xf1ff
	v_cndmask_b32_e64 v13, 0x7f800000, v19, s1
	v_div_scale_f32 v24, s1, 1.0, v18, 1.0
	s_delay_alu instid0(TRANS32_DEP_1) | instskip(NEXT) | instid1(VALU_DEP_3)
	v_fma_f32 v26, -v20, v23, 1.0
	v_add_f32_e32 v13, 1.0, v13
	s_delay_alu instid0(VALU_DEP_2) | instskip(NEXT) | instid1(VALU_DEP_2)
	v_fmac_f32_e32 v23, v26, v23
	v_div_scale_f32 v19, null, v13, v13, 1.0
	v_div_scale_f32 v21, vcc_lo, 1.0, v13, 1.0
	s_delay_alu instid0(VALU_DEP_3) | instskip(NEXT) | instid1(VALU_DEP_3)
	v_mul_f32_e32 v26, v24, v23
	v_rcp_f32_e32 v22, v19
	s_delay_alu instid0(VALU_DEP_1) | instskip(NEXT) | instid1(VALU_DEP_1)
	v_fma_f32 v28, -v20, v26, v24
	v_fmac_f32_e32 v26, v28, v23
	s_delay_alu instid0(TRANS32_DEP_1) | instskip(NEXT) | instid1(VALU_DEP_2)
	v_fma_f32 v25, -v19, v22, 1.0
	v_fma_f32 v20, -v20, v26, v24
	s_delay_alu instid0(VALU_DEP_2) | instskip(NEXT) | instid1(VALU_DEP_1)
	v_fmac_f32_e32 v22, v25, v22
	v_mul_f32_e32 v25, v21, v22
	s_delay_alu instid0(VALU_DEP_1) | instskip(NEXT) | instid1(VALU_DEP_1)
	v_fma_f32 v27, -v19, v25, v21
	v_fmac_f32_e32 v25, v27, v22
	s_delay_alu instid0(VALU_DEP_1) | instskip(SKIP_1) | instid1(VALU_DEP_1)
	v_fma_f32 v19, -v19, v25, v21
	s_wait_alu 0xfffd
	v_div_fmas_f32 v19, v19, v22, v25
	s_mov_b32 vcc_lo, s1
	s_wait_alu 0xfffe
	v_div_fmas_f32 v20, v20, v23, v26
	s_delay_alu instid0(VALU_DEP_2) | instskip(NEXT) | instid1(VALU_DEP_2)
	v_div_fixup_f32 v13, v19, v13, 1.0
	v_div_fixup_f32 v18, v20, v18, 1.0
	s_delay_alu instid0(VALU_DEP_1) | instskip(NEXT) | instid1(VALU_DEP_1)
	v_dual_mul_f32 v13, v15, v13 :: v_dual_mul_f32 v14, v14, v18
	v_dual_mul_f32 v13, v16, v13 :: v_dual_mul_f32 v14, v17, v14
	s_delay_alu instid0(VALU_DEP_1) | instskip(SKIP_1) | instid1(VALU_DEP_3)
	v_lshrrev_b32_e32 v15, 16, v13
	v_cmp_o_f32_e32 vcc_lo, v13, v13
	v_lshrrev_b32_e32 v16, 16, v14
	v_cmp_o_f32_e64 s1, v14, v14
	s_delay_alu instid0(VALU_DEP_4) | instskip(NEXT) | instid1(VALU_DEP_3)
	v_and_b32_e32 v15, 1, v15
	v_and_b32_e32 v16, 1, v16
	s_delay_alu instid0(VALU_DEP_2) | instskip(NEXT) | instid1(VALU_DEP_2)
	v_add3_u32 v15, v13, v15, 0x7fff
	v_add3_u32 v16, v14, v16, 0x7fff
	s_delay_alu instid0(VALU_DEP_2) | instskip(NEXT) | instid1(VALU_DEP_2)
	v_lshrrev_b32_e32 v15, 16, v15
	v_lshrrev_b32_e32 v13, 16, v16
	s_wait_alu 0xfffd
	s_delay_alu instid0(VALU_DEP_2) | instskip(SKIP_1) | instid1(VALU_DEP_2)
	v_cndmask_b32_e32 v14, 0x7fc0, v15, vcc_lo
	s_wait_alu 0xf1ff
	v_cndmask_b32_e64 v13, 0x7fc0, v13, s1
	s_delay_alu instid0(VALU_DEP_1)
	v_perm_b32 v13, v13, v14, 0x5040100
	global_store_b32 v[9:10], v13, off
	v_add_co_u32 v9, vcc_lo, v9, 4
	s_wait_alu 0xfffd
	v_add_co_ci_u32_e64 v10, null, 0, v10, vcc_lo
	s_and_not1_b32 exec_lo, exec_lo, s20
	s_cbranch_execnz .LBB17_5
; %bb.6:
	s_or_b32 exec_lo, exec_lo, s20
	v_cmp_ne_u64_e32 vcc_lo, v[5:6], v[7:8]
	v_add_co_u32 v0, s0, v7, v0
	s_wait_alu 0xf1ff
	v_add_co_ci_u32_e64 v1, null, 0, v8, s0
	v_dual_mov_b32 v2, s4 :: v_dual_mov_b32 v3, s5
	s_and_not1_b32 s0, s9, exec_lo
	s_and_b32 s1, vcc_lo, exec_lo
	s_wait_alu 0xfffe
	s_or_b32 s9, s0, s1
.LBB17_7:
	s_or_b32 exec_lo, exec_lo, s8
	s_delay_alu instid0(SALU_CYCLE_1)
	s_and_b32 exec_lo, exec_lo, s9
	s_cbranch_execz .LBB17_10
; %bb.8:
	v_lshlrev_b64_e32 v[3:4], 1, v[0:1]
	s_lshl_b64 s[0:1], s[10:11], 1
	v_lshlrev_b64_e32 v[5:6], 2, v[0:1]
	s_wait_kmcnt 0x0
	s_wait_alu 0xfffe
	s_add_nc_u64 s[0:1], s[12:13], s[0:1]
	v_mov_b32_e32 v7, s6
	s_mov_b32 s4, 0
	s_wait_alu 0xfffe
	v_add_co_u32 v3, vcc_lo, s0, v3
	s_wait_alu 0xfffd
	v_add_co_ci_u32_e64 v4, null, s1, v4, vcc_lo
	v_add_co_u32 v5, vcc_lo, s14, v5
	s_wait_alu 0xfffd
	v_add_co_ci_u32_e64 v6, null, s15, v6, vcc_lo
	s_lshl_b32 s8, s7, 1
	s_lshl_b32 s9, s7, 2
.LBB17_9:                               ; =>This Inner Loop Header: Depth=1
	global_load_b32 v8, v[5:6], off
	v_add_co_u32 v0, vcc_lo, v0, s7
	s_wait_alu 0xfffd
	v_add_co_ci_u32_e64 v1, null, 0, v1, vcc_lo
	v_add_co_u32 v5, vcc_lo, v5, s9
	s_wait_alu 0xfffd
	v_add_co_ci_u32_e64 v6, null, 0, v6, vcc_lo
	s_delay_alu instid0(VALU_DEP_3) | instskip(SKIP_4) | instid1(VALU_DEP_2)
	v_cmp_le_i64_e64 s0, s[2:3], v[0:1]
	s_or_b32 s4, s0, s4
	s_wait_loadcnt 0x0
	v_lshlrev_b32_e32 v9, 16, v8
	v_and_b32_e32 v8, 0xffff0000, v8
	v_cmp_lt_f32_e32 vcc_lo, v2, v9
	s_delay_alu instid0(VALU_DEP_2) | instskip(SKIP_3) | instid1(VALU_DEP_2)
	v_cmp_lt_f32_e64 s1, v8, -s6
	s_wait_alu 0xfffd
	v_cndmask_b32_e64 v9, v9, s6, vcc_lo
	s_wait_alu 0xf1ff
	v_cndmask_b32_e64 v10, v8, -s6, s1
	v_cmp_lt_f32_e32 vcc_lo, v7, v8
	s_delay_alu instid0(VALU_DEP_3) | instskip(SKIP_1) | instid1(VALU_DEP_3)
	v_mul_f32_e64 v8, s5, -v9
	s_wait_alu 0xfffd
	v_cndmask_b32_e64 v10, v10, s6, vcc_lo
	s_delay_alu instid0(VALU_DEP_2) | instskip(SKIP_1) | instid1(VALU_DEP_3)
	v_mul_f32_e32 v11, 0x3fb8aa3b, v8
	v_cmp_ngt_f32_e64 s1, 0xc2ce8ed0, v8
	v_add_f32_e32 v10, 1.0, v10
	s_delay_alu instid0(VALU_DEP_3) | instskip(SKIP_1) | instid1(VALU_DEP_1)
	v_fma_f32 v12, 0x3fb8aa3b, v8, -v11
	v_rndne_f32_e32 v13, v11
	v_dual_fmac_f32 v12, 0x32a5705f, v8 :: v_dual_sub_f32 v11, v11, v13
	s_delay_alu instid0(VALU_DEP_1) | instskip(SKIP_1) | instid1(VALU_DEP_2)
	v_add_f32_e32 v11, v11, v12
	v_cvt_i32_f32_e32 v12, v13
	v_exp_f32_e32 v11, v11
	s_delay_alu instid0(TRANS32_DEP_1) | instskip(SKIP_1) | instid1(VALU_DEP_1)
	v_ldexp_f32 v11, v11, v12
	s_wait_alu 0xf1ff
	v_cndmask_b32_e64 v11, 0, v11, s1
	v_cmp_nlt_f32_e64 s1, 0x42b17218, v8
	s_wait_alu 0xf1ff
	s_delay_alu instid0(VALU_DEP_1) | instskip(NEXT) | instid1(VALU_DEP_1)
	v_cndmask_b32_e64 v8, 0x7f800000, v11, s1
	v_add_f32_e32 v8, 1.0, v8
	s_delay_alu instid0(VALU_DEP_1) | instskip(SKIP_1) | instid1(VALU_DEP_2)
	v_div_scale_f32 v11, null, v8, v8, 1.0
	v_div_scale_f32 v13, vcc_lo, 1.0, v8, 1.0
	v_rcp_f32_e32 v12, v11
	s_delay_alu instid0(TRANS32_DEP_1) | instskip(NEXT) | instid1(VALU_DEP_1)
	v_fma_f32 v14, -v11, v12, 1.0
	v_fmac_f32_e32 v12, v14, v12
	s_delay_alu instid0(VALU_DEP_1) | instskip(NEXT) | instid1(VALU_DEP_1)
	v_mul_f32_e32 v14, v13, v12
	v_fma_f32 v15, -v11, v14, v13
	s_delay_alu instid0(VALU_DEP_1) | instskip(NEXT) | instid1(VALU_DEP_1)
	v_fmac_f32_e32 v14, v15, v12
	v_fma_f32 v11, -v11, v14, v13
	s_wait_alu 0xfffd
	s_delay_alu instid0(VALU_DEP_1) | instskip(NEXT) | instid1(VALU_DEP_1)
	v_div_fmas_f32 v11, v11, v12, v14
	v_div_fixup_f32 v8, v11, v8, 1.0
	s_delay_alu instid0(VALU_DEP_1) | instskip(NEXT) | instid1(VALU_DEP_1)
	v_mul_f32_e32 v8, v9, v8
	v_mul_f32_e32 v8, v10, v8
	s_delay_alu instid0(VALU_DEP_1) | instskip(SKIP_1) | instid1(VALU_DEP_2)
	v_bfe_u32 v9, v8, 16, 1
	v_cmp_o_f32_e32 vcc_lo, v8, v8
	v_add3_u32 v9, v8, v9, 0x7fff
	s_delay_alu instid0(VALU_DEP_1) | instskip(SKIP_1) | instid1(VALU_DEP_1)
	v_lshrrev_b32_e32 v9, 16, v9
	s_wait_alu 0xfffd
	v_cndmask_b32_e32 v8, 0x7fc0, v9, vcc_lo
	global_store_b16 v[3:4], v8, off
	v_add_co_u32 v3, vcc_lo, v3, s8
	s_wait_alu 0xfffd
	v_add_co_ci_u32_e64 v4, null, 0, v4, vcc_lo
	s_wait_alu 0xfffe
	s_and_not1_b32 exec_lo, exec_lo, s4
	s_cbranch_execnz .LBB17_9
.LBB17_10:
	s_endpgm
	.section	.rodata,"a",@progbits
	.p2align	6, 0x0
	.amdhsa_kernel _ZN4vllm24swigluoai_and_mul_kernelIN3c108BFloat16ETnPFT_RKS3_S5_ffEXadL_ZNS_17swigluoai_and_mulIS2_EES3_S5_S5_ffEEEEvPS3_PS4_iff
		.amdhsa_group_segment_fixed_size 0
		.amdhsa_private_segment_fixed_size 0
		.amdhsa_kernarg_size 288
		.amdhsa_user_sgpr_count 2
		.amdhsa_user_sgpr_dispatch_ptr 0
		.amdhsa_user_sgpr_queue_ptr 0
		.amdhsa_user_sgpr_kernarg_segment_ptr 1
		.amdhsa_user_sgpr_dispatch_id 0
		.amdhsa_user_sgpr_private_segment_size 0
		.amdhsa_wavefront_size32 1
		.amdhsa_uses_dynamic_stack 0
		.amdhsa_enable_private_segment 0
		.amdhsa_system_sgpr_workgroup_id_x 1
		.amdhsa_system_sgpr_workgroup_id_y 0
		.amdhsa_system_sgpr_workgroup_id_z 0
		.amdhsa_system_sgpr_workgroup_info 0
		.amdhsa_system_vgpr_workitem_id 0
		.amdhsa_next_free_vgpr 29
		.amdhsa_next_free_sgpr 22
		.amdhsa_reserve_vcc 1
		.amdhsa_float_round_mode_32 0
		.amdhsa_float_round_mode_16_64 0
		.amdhsa_float_denorm_mode_32 3
		.amdhsa_float_denorm_mode_16_64 3
		.amdhsa_fp16_overflow 0
		.amdhsa_workgroup_processor_mode 1
		.amdhsa_memory_ordered 1
		.amdhsa_forward_progress 1
		.amdhsa_inst_pref_size 16
		.amdhsa_round_robin_scheduling 0
		.amdhsa_exception_fp_ieee_invalid_op 0
		.amdhsa_exception_fp_denorm_src 0
		.amdhsa_exception_fp_ieee_div_zero 0
		.amdhsa_exception_fp_ieee_overflow 0
		.amdhsa_exception_fp_ieee_underflow 0
		.amdhsa_exception_fp_ieee_inexact 0
		.amdhsa_exception_int_div_zero 0
	.end_amdhsa_kernel
	.section	.text._ZN4vllm24swigluoai_and_mul_kernelIN3c108BFloat16ETnPFT_RKS3_S5_ffEXadL_ZNS_17swigluoai_and_mulIS2_EES3_S5_S5_ffEEEEvPS3_PS4_iff,"axG",@progbits,_ZN4vllm24swigluoai_and_mul_kernelIN3c108BFloat16ETnPFT_RKS3_S5_ffEXadL_ZNS_17swigluoai_and_mulIS2_EES3_S5_S5_ffEEEEvPS3_PS4_iff,comdat
.Lfunc_end17:
	.size	_ZN4vllm24swigluoai_and_mul_kernelIN3c108BFloat16ETnPFT_RKS3_S5_ffEXadL_ZNS_17swigluoai_and_mulIS2_EES3_S5_S5_ffEEEEvPS3_PS4_iff, .Lfunc_end17-_ZN4vllm24swigluoai_and_mul_kernelIN3c108BFloat16ETnPFT_RKS3_S5_ffEXadL_ZNS_17swigluoai_and_mulIS2_EES3_S5_S5_ffEEEEvPS3_PS4_iff
                                        ; -- End function
	.set _ZN4vllm24swigluoai_and_mul_kernelIN3c108BFloat16ETnPFT_RKS3_S5_ffEXadL_ZNS_17swigluoai_and_mulIS2_EES3_S5_S5_ffEEEEvPS3_PS4_iff.num_vgpr, 29
	.set _ZN4vllm24swigluoai_and_mul_kernelIN3c108BFloat16ETnPFT_RKS3_S5_ffEXadL_ZNS_17swigluoai_and_mulIS2_EES3_S5_S5_ffEEEEvPS3_PS4_iff.num_agpr, 0
	.set _ZN4vllm24swigluoai_and_mul_kernelIN3c108BFloat16ETnPFT_RKS3_S5_ffEXadL_ZNS_17swigluoai_and_mulIS2_EES3_S5_S5_ffEEEEvPS3_PS4_iff.numbered_sgpr, 22
	.set _ZN4vllm24swigluoai_and_mul_kernelIN3c108BFloat16ETnPFT_RKS3_S5_ffEXadL_ZNS_17swigluoai_and_mulIS2_EES3_S5_S5_ffEEEEvPS3_PS4_iff.num_named_barrier, 0
	.set _ZN4vllm24swigluoai_and_mul_kernelIN3c108BFloat16ETnPFT_RKS3_S5_ffEXadL_ZNS_17swigluoai_and_mulIS2_EES3_S5_S5_ffEEEEvPS3_PS4_iff.private_seg_size, 0
	.set _ZN4vllm24swigluoai_and_mul_kernelIN3c108BFloat16ETnPFT_RKS3_S5_ffEXadL_ZNS_17swigluoai_and_mulIS2_EES3_S5_S5_ffEEEEvPS3_PS4_iff.uses_vcc, 1
	.set _ZN4vllm24swigluoai_and_mul_kernelIN3c108BFloat16ETnPFT_RKS3_S5_ffEXadL_ZNS_17swigluoai_and_mulIS2_EES3_S5_S5_ffEEEEvPS3_PS4_iff.uses_flat_scratch, 0
	.set _ZN4vllm24swigluoai_and_mul_kernelIN3c108BFloat16ETnPFT_RKS3_S5_ffEXadL_ZNS_17swigluoai_and_mulIS2_EES3_S5_S5_ffEEEEvPS3_PS4_iff.has_dyn_sized_stack, 0
	.set _ZN4vllm24swigluoai_and_mul_kernelIN3c108BFloat16ETnPFT_RKS3_S5_ffEXadL_ZNS_17swigluoai_and_mulIS2_EES3_S5_S5_ffEEEEvPS3_PS4_iff.has_recursion, 0
	.set _ZN4vllm24swigluoai_and_mul_kernelIN3c108BFloat16ETnPFT_RKS3_S5_ffEXadL_ZNS_17swigluoai_and_mulIS2_EES3_S5_S5_ffEEEEvPS3_PS4_iff.has_indirect_call, 0
	.section	.AMDGPU.csdata,"",@progbits
; Kernel info:
; codeLenInByte = 1948
; TotalNumSgprs: 24
; NumVgprs: 29
; ScratchSize: 0
; MemoryBound: 0
; FloatMode: 240
; IeeeMode: 1
; LDSByteSize: 0 bytes/workgroup (compile time only)
; SGPRBlocks: 0
; VGPRBlocks: 3
; NumSGPRsForWavesPerEU: 24
; NumVGPRsForWavesPerEU: 29
; Occupancy: 16
; WaveLimiterHint : 0
; COMPUTE_PGM_RSRC2:SCRATCH_EN: 0
; COMPUTE_PGM_RSRC2:USER_SGPR: 2
; COMPUTE_PGM_RSRC2:TRAP_HANDLER: 0
; COMPUTE_PGM_RSRC2:TGID_X_EN: 1
; COMPUTE_PGM_RSRC2:TGID_Y_EN: 0
; COMPUTE_PGM_RSRC2:TGID_Z_EN: 0
; COMPUTE_PGM_RSRC2:TIDIG_COMP_CNT: 0
	.section	.text._ZN4vllm17activation_kernelIfTnPFT_RKS1_EXadL_ZNS_15gelu_new_kernelIfEES1_S3_EEEEvPS1_PS2_i,"axG",@progbits,_ZN4vllm17activation_kernelIfTnPFT_RKS1_EXadL_ZNS_15gelu_new_kernelIfEES1_S3_EEEEvPS1_PS2_i,comdat
	.protected	_ZN4vllm17activation_kernelIfTnPFT_RKS1_EXadL_ZNS_15gelu_new_kernelIfEES1_S3_EEEEvPS1_PS2_i ; -- Begin function _ZN4vllm17activation_kernelIfTnPFT_RKS1_EXadL_ZNS_15gelu_new_kernelIfEES1_S3_EEEEvPS1_PS2_i
	.globl	_ZN4vllm17activation_kernelIfTnPFT_RKS1_EXadL_ZNS_15gelu_new_kernelIfEES1_S3_EEEEvPS1_PS2_i
	.p2align	8
	.type	_ZN4vllm17activation_kernelIfTnPFT_RKS1_EXadL_ZNS_15gelu_new_kernelIfEES1_S3_EEEEvPS1_PS2_i,@function
_ZN4vllm17activation_kernelIfTnPFT_RKS1_EXadL_ZNS_15gelu_new_kernelIfEES1_S3_EEEEvPS1_PS2_i: ; @_ZN4vllm17activation_kernelIfTnPFT_RKS1_EXadL_ZNS_15gelu_new_kernelIfEES1_S3_EEEEvPS1_PS2_i
; %bb.0:
	s_load_b32 s2, s[0:1], 0x10
	s_mov_b32 s3, exec_lo
	s_wait_kmcnt 0x0
	v_cmpx_gt_i32_e64 s2, v0
	s_cbranch_execz .LBB18_7
; %bb.1:
	v_mov_b32_e32 v1, 0
	s_clause 0x1
	s_load_b32 s8, s[0:1], 0x24
	s_load_b128 s[4:7], s[0:1], 0x0
	s_ashr_i32 s3, s2, 31
	s_mov_b32 s10, 0xbbbac73d
	v_mad_co_u64_u32 v[2:3], null, s2, ttmp9, v[0:1]
	s_wait_alu 0xfffe
	s_delay_alu instid0(VALU_DEP_1) | instskip(SKIP_2) | instid1(VALU_DEP_1)
	v_mad_co_u64_u32 v[3:4], null, s3, ttmp9, v[3:4]
	s_wait_kmcnt 0x0
	s_and_b32 s1, s8, 0xffff
	v_lshlrev_b64_e32 v[2:3], 2, v[2:3]
	s_mov_b32 s8, 0
	s_wait_alu 0xfffe
	s_lshl_b32 s9, s1, 2
	s_branch .LBB18_3
.LBB18_2:                               ;   in Loop: Header=BB18_3 Depth=1
	s_wait_alu 0xfffe
	s_or_b32 exec_lo, exec_lo, s0
	s_delay_alu instid0(VALU_DEP_1)
	v_bfi_b32 v5, 0x7fffffff, v6, v5
	v_mul_f32_e32 v4, 0.5, v4
	v_add_co_u32 v0, vcc_lo, v0, s1
	s_wait_alu 0xfffd
	v_add_co_ci_u32_e64 v1, null, 0, v1, vcc_lo
	v_add_f32_e32 v5, 1.0, v5
	s_delay_alu instid0(VALU_DEP_1)
	v_mul_f32_e32 v6, v4, v5
	v_add_co_u32 v4, vcc_lo, s4, v2
	s_wait_alu 0xfffd
	v_add_co_ci_u32_e64 v5, null, s5, v3, vcc_lo
	v_cmp_le_i64_e32 vcc_lo, s[2:3], v[0:1]
	v_add_co_u32 v2, s0, v2, s9
	s_wait_alu 0xf1ff
	v_add_co_ci_u32_e64 v3, null, 0, v3, s0
	global_store_b32 v[4:5], v6, off
	s_or_b32 s8, vcc_lo, s8
	s_wait_alu 0xfffe
	s_and_not1_b32 exec_lo, exec_lo, s8
	s_cbranch_execz .LBB18_7
.LBB18_3:                               ; =>This Inner Loop Header: Depth=1
	s_delay_alu instid0(VALU_DEP_1)
	v_add_co_u32 v4, vcc_lo, s6, v2
	s_wait_alu 0xfffd
	v_add_co_ci_u32_e64 v5, null, s7, v3, vcc_lo
                                        ; implicit-def: $vgpr6
	global_load_b32 v4, v[4:5], off
	s_wait_loadcnt 0x0
	v_mul_f32_e32 v5, v4, v4
	s_delay_alu instid0(VALU_DEP_1) | instskip(NEXT) | instid1(VALU_DEP_1)
	v_mul_f32_e32 v5, v4, v5
	v_fmamk_f32 v5, v5, 0x3d372713, v4
	s_delay_alu instid0(VALU_DEP_1) | instskip(NEXT) | instid1(VALU_DEP_1)
	v_mul_f32_e32 v5, 0x3f4c422a, v5
	v_cmp_ngt_f32_e64 s0, 0x3f200000, |v5|
	s_and_saveexec_b32 s11, s0
	s_wait_alu 0xfffe
	s_xor_b32 s0, exec_lo, s11
	s_cbranch_execz .LBB18_5
; %bb.4:                                ;   in Loop: Header=BB18_3 Depth=1
	v_add_f32_e64 v6, |v5|, |v5|
	s_delay_alu instid0(VALU_DEP_1) | instskip(SKIP_1) | instid1(VALU_DEP_2)
	v_mul_f32_e32 v7, 0x3fb8aa3b, v6
	v_cmp_ngt_f32_e32 vcc_lo, 0xc2ce8ed0, v6
	v_rndne_f32_e32 v8, v7
	v_fma_f32 v9, 0x3fb8aa3b, v6, -v7
	s_delay_alu instid0(VALU_DEP_2) | instskip(NEXT) | instid1(VALU_DEP_2)
	v_sub_f32_e32 v7, v7, v8
	v_fmac_f32_e32 v9, 0x32a5705f, v6
	v_cvt_i32_f32_e32 v8, v8
	s_delay_alu instid0(VALU_DEP_2) | instskip(NEXT) | instid1(VALU_DEP_1)
	v_add_f32_e32 v7, v7, v9
	v_exp_f32_e32 v7, v7
	s_delay_alu instid0(TRANS32_DEP_1) | instskip(SKIP_1) | instid1(VALU_DEP_1)
	v_ldexp_f32 v7, v7, v8
	s_wait_alu 0xfffd
	v_cndmask_b32_e32 v7, 0, v7, vcc_lo
	v_cmp_nlt_f32_e32 vcc_lo, 0x42b17218, v6
	s_wait_alu 0xfffd
	s_delay_alu instid0(VALU_DEP_2) | instskip(NEXT) | instid1(VALU_DEP_1)
	v_cndmask_b32_e32 v6, 0x7f800000, v7, vcc_lo
	v_add_f32_e32 v6, 1.0, v6
	s_delay_alu instid0(VALU_DEP_1) | instskip(NEXT) | instid1(TRANS32_DEP_1)
	v_rcp_f32_e32 v6, v6
	v_fma_f32 v6, v6, -2.0, 1.0
.LBB18_5:                               ;   in Loop: Header=BB18_3 Depth=1
	s_wait_alu 0xfffe
	s_and_not1_saveexec_b32 s0, s0
	s_cbranch_execz .LBB18_2
; %bb.6:                                ;   in Loop: Header=BB18_3 Depth=1
	v_mul_f32_e32 v6, v5, v5
	s_delay_alu instid0(VALU_DEP_1) | instskip(NEXT) | instid1(VALU_DEP_1)
	v_fmaak_f32 v7, s10, v6, 0x3ca908c9
	v_fmaak_f32 v7, v6, v7, 0xbd5c1c4e
	s_delay_alu instid0(VALU_DEP_1) | instskip(NEXT) | instid1(VALU_DEP_1)
	v_fmaak_f32 v7, v6, v7, 0x3e088382
	v_fmaak_f32 v7, v6, v7, 0xbeaaaa99
	s_delay_alu instid0(VALU_DEP_1) | instskip(NEXT) | instid1(VALU_DEP_1)
	v_mul_f32_e64 v7, |v5|, v7
	v_fma_f32 v6, v6, v7, |v5|
	s_branch .LBB18_2
.LBB18_7:
	s_endpgm
	.section	.rodata,"a",@progbits
	.p2align	6, 0x0
	.amdhsa_kernel _ZN4vllm17activation_kernelIfTnPFT_RKS1_EXadL_ZNS_15gelu_new_kernelIfEES1_S3_EEEEvPS1_PS2_i
		.amdhsa_group_segment_fixed_size 0
		.amdhsa_private_segment_fixed_size 0
		.amdhsa_kernarg_size 280
		.amdhsa_user_sgpr_count 2
		.amdhsa_user_sgpr_dispatch_ptr 0
		.amdhsa_user_sgpr_queue_ptr 0
		.amdhsa_user_sgpr_kernarg_segment_ptr 1
		.amdhsa_user_sgpr_dispatch_id 0
		.amdhsa_user_sgpr_private_segment_size 0
		.amdhsa_wavefront_size32 1
		.amdhsa_uses_dynamic_stack 0
		.amdhsa_enable_private_segment 0
		.amdhsa_system_sgpr_workgroup_id_x 1
		.amdhsa_system_sgpr_workgroup_id_y 0
		.amdhsa_system_sgpr_workgroup_id_z 0
		.amdhsa_system_sgpr_workgroup_info 0
		.amdhsa_system_vgpr_workitem_id 0
		.amdhsa_next_free_vgpr 10
		.amdhsa_next_free_sgpr 12
		.amdhsa_reserve_vcc 1
		.amdhsa_float_round_mode_32 0
		.amdhsa_float_round_mode_16_64 0
		.amdhsa_float_denorm_mode_32 3
		.amdhsa_float_denorm_mode_16_64 3
		.amdhsa_fp16_overflow 0
		.amdhsa_workgroup_processor_mode 1
		.amdhsa_memory_ordered 1
		.amdhsa_forward_progress 1
		.amdhsa_inst_pref_size 5
		.amdhsa_round_robin_scheduling 0
		.amdhsa_exception_fp_ieee_invalid_op 0
		.amdhsa_exception_fp_denorm_src 0
		.amdhsa_exception_fp_ieee_div_zero 0
		.amdhsa_exception_fp_ieee_overflow 0
		.amdhsa_exception_fp_ieee_underflow 0
		.amdhsa_exception_fp_ieee_inexact 0
		.amdhsa_exception_int_div_zero 0
	.end_amdhsa_kernel
	.section	.text._ZN4vllm17activation_kernelIfTnPFT_RKS1_EXadL_ZNS_15gelu_new_kernelIfEES1_S3_EEEEvPS1_PS2_i,"axG",@progbits,_ZN4vllm17activation_kernelIfTnPFT_RKS1_EXadL_ZNS_15gelu_new_kernelIfEES1_S3_EEEEvPS1_PS2_i,comdat
.Lfunc_end18:
	.size	_ZN4vllm17activation_kernelIfTnPFT_RKS1_EXadL_ZNS_15gelu_new_kernelIfEES1_S3_EEEEvPS1_PS2_i, .Lfunc_end18-_ZN4vllm17activation_kernelIfTnPFT_RKS1_EXadL_ZNS_15gelu_new_kernelIfEES1_S3_EEEEvPS1_PS2_i
                                        ; -- End function
	.set _ZN4vllm17activation_kernelIfTnPFT_RKS1_EXadL_ZNS_15gelu_new_kernelIfEES1_S3_EEEEvPS1_PS2_i.num_vgpr, 10
	.set _ZN4vllm17activation_kernelIfTnPFT_RKS1_EXadL_ZNS_15gelu_new_kernelIfEES1_S3_EEEEvPS1_PS2_i.num_agpr, 0
	.set _ZN4vllm17activation_kernelIfTnPFT_RKS1_EXadL_ZNS_15gelu_new_kernelIfEES1_S3_EEEEvPS1_PS2_i.numbered_sgpr, 12
	.set _ZN4vllm17activation_kernelIfTnPFT_RKS1_EXadL_ZNS_15gelu_new_kernelIfEES1_S3_EEEEvPS1_PS2_i.num_named_barrier, 0
	.set _ZN4vllm17activation_kernelIfTnPFT_RKS1_EXadL_ZNS_15gelu_new_kernelIfEES1_S3_EEEEvPS1_PS2_i.private_seg_size, 0
	.set _ZN4vllm17activation_kernelIfTnPFT_RKS1_EXadL_ZNS_15gelu_new_kernelIfEES1_S3_EEEEvPS1_PS2_i.uses_vcc, 1
	.set _ZN4vllm17activation_kernelIfTnPFT_RKS1_EXadL_ZNS_15gelu_new_kernelIfEES1_S3_EEEEvPS1_PS2_i.uses_flat_scratch, 0
	.set _ZN4vllm17activation_kernelIfTnPFT_RKS1_EXadL_ZNS_15gelu_new_kernelIfEES1_S3_EEEEvPS1_PS2_i.has_dyn_sized_stack, 0
	.set _ZN4vllm17activation_kernelIfTnPFT_RKS1_EXadL_ZNS_15gelu_new_kernelIfEES1_S3_EEEEvPS1_PS2_i.has_recursion, 0
	.set _ZN4vllm17activation_kernelIfTnPFT_RKS1_EXadL_ZNS_15gelu_new_kernelIfEES1_S3_EEEEvPS1_PS2_i.has_indirect_call, 0
	.section	.AMDGPU.csdata,"",@progbits
; Kernel info:
; codeLenInByte = 576
; TotalNumSgprs: 14
; NumVgprs: 10
; ScratchSize: 0
; MemoryBound: 0
; FloatMode: 240
; IeeeMode: 1
; LDSByteSize: 0 bytes/workgroup (compile time only)
; SGPRBlocks: 0
; VGPRBlocks: 1
; NumSGPRsForWavesPerEU: 14
; NumVGPRsForWavesPerEU: 10
; Occupancy: 16
; WaveLimiterHint : 0
; COMPUTE_PGM_RSRC2:SCRATCH_EN: 0
; COMPUTE_PGM_RSRC2:USER_SGPR: 2
; COMPUTE_PGM_RSRC2:TRAP_HANDLER: 0
; COMPUTE_PGM_RSRC2:TGID_X_EN: 1
; COMPUTE_PGM_RSRC2:TGID_Y_EN: 0
; COMPUTE_PGM_RSRC2:TGID_Z_EN: 0
; COMPUTE_PGM_RSRC2:TIDIG_COMP_CNT: 0
	.section	.text._ZN4vllm17activation_kernelIN3c104HalfETnPFT_RKS3_EXadL_ZNS_15gelu_new_kernelIS2_EES3_S5_EEEEvPS3_PS4_i,"axG",@progbits,_ZN4vllm17activation_kernelIN3c104HalfETnPFT_RKS3_EXadL_ZNS_15gelu_new_kernelIS2_EES3_S5_EEEEvPS3_PS4_i,comdat
	.protected	_ZN4vllm17activation_kernelIN3c104HalfETnPFT_RKS3_EXadL_ZNS_15gelu_new_kernelIS2_EES3_S5_EEEEvPS3_PS4_i ; -- Begin function _ZN4vllm17activation_kernelIN3c104HalfETnPFT_RKS3_EXadL_ZNS_15gelu_new_kernelIS2_EES3_S5_EEEEvPS3_PS4_i
	.globl	_ZN4vllm17activation_kernelIN3c104HalfETnPFT_RKS3_EXadL_ZNS_15gelu_new_kernelIS2_EES3_S5_EEEEvPS3_PS4_i
	.p2align	8
	.type	_ZN4vllm17activation_kernelIN3c104HalfETnPFT_RKS3_EXadL_ZNS_15gelu_new_kernelIS2_EES3_S5_EEEEvPS3_PS4_i,@function
_ZN4vllm17activation_kernelIN3c104HalfETnPFT_RKS3_EXadL_ZNS_15gelu_new_kernelIS2_EES3_S5_EEEEvPS3_PS4_i: ; @_ZN4vllm17activation_kernelIN3c104HalfETnPFT_RKS3_EXadL_ZNS_15gelu_new_kernelIS2_EES3_S5_EEEEvPS3_PS4_i
; %bb.0:
	s_load_b32 s2, s[0:1], 0x10
	s_mov_b32 s3, exec_lo
	s_wait_kmcnt 0x0
	v_cmpx_gt_i32_e64 s2, v0
	s_cbranch_execz .LBB19_7
; %bb.1:
	v_mov_b32_e32 v1, 0
	s_clause 0x1
	s_load_b32 s8, s[0:1], 0x24
	s_load_b128 s[4:7], s[0:1], 0x0
	s_ashr_i32 s3, s2, 31
	s_mov_b32 s1, 0
	s_mov_b32 s10, 0x3d372713
	v_mad_co_u64_u32 v[2:3], null, s2, ttmp9, v[0:1]
	s_mov_b32 s11, 0x3f4c422a
	s_mov_b32 s12, 0xbbbac73d
	s_wait_alu 0xfffe
	v_mad_co_u64_u32 v[3:4], null, s3, ttmp9, v[3:4]
	s_wait_kmcnt 0x0
	s_and_b32 s8, s8, 0xffff
	s_delay_alu instid0(VALU_DEP_1)
	v_lshlrev_b64_e32 v[2:3], 1, v[2:3]
	s_lshl_b32 s9, s8, 1
	s_branch .LBB19_3
.LBB19_2:                               ;   in Loop: Header=BB19_3 Depth=1
	s_wait_alu 0xfffe
	s_or_b32 exec_lo, exec_lo, s0
	s_delay_alu instid0(VALU_DEP_1)
	v_cvt_f16_f32_e32 v6, v6
	v_lshrrev_b32_e32 v5, 16, v5
	v_mul_f16_e32 v7, 0.5, v4
	v_add_co_u32 v0, vcc_lo, v0, s8
	s_wait_alu 0xfffd
	v_add_co_ci_u32_e64 v1, null, 0, v1, vcc_lo
	v_bfi_b32 v4, 0x7fff, v6, v5
	s_delay_alu instid0(VALU_DEP_1)
	v_add_f16_e32 v6, 1.0, v4
	v_add_co_u32 v4, vcc_lo, s4, v2
	s_wait_alu 0xfffd
	v_add_co_ci_u32_e64 v5, null, s5, v3, vcc_lo
	v_cmp_le_i64_e32 vcc_lo, s[2:3], v[0:1]
	v_add_co_u32 v2, s0, v2, s9
	v_mul_f16_e32 v6, v7, v6
	s_wait_alu 0xf1ff
	v_add_co_ci_u32_e64 v3, null, 0, v3, s0
	s_or_b32 s1, vcc_lo, s1
	global_store_b16 v[4:5], v6, off
	s_wait_alu 0xfffe
	s_and_not1_b32 exec_lo, exec_lo, s1
	s_cbranch_execz .LBB19_7
.LBB19_3:                               ; =>This Inner Loop Header: Depth=1
	s_delay_alu instid0(VALU_DEP_1) | instskip(SKIP_1) | instid1(VALU_DEP_2)
	v_add_co_u32 v4, vcc_lo, s6, v2
	s_wait_alu 0xfffd
	v_add_co_ci_u32_e64 v5, null, s7, v3, vcc_lo
                                        ; implicit-def: $vgpr6
	global_load_u16 v4, v[4:5], off
	s_wait_loadcnt 0x0
	v_mul_f16_e32 v5, v4, v4
	s_delay_alu instid0(VALU_DEP_1) | instskip(NEXT) | instid1(VALU_DEP_1)
	v_mul_f16_e32 v5, v4, v5
	v_fma_mixlo_f16 v5, v5, s10, 0 op_sel_hi:[1,0,0]
	s_delay_alu instid0(VALU_DEP_1) | instskip(NEXT) | instid1(VALU_DEP_1)
	v_add_f16_e32 v5, v4, v5
	v_fma_mixlo_f16 v5, v5, s11, 0 op_sel_hi:[1,0,0]
	s_delay_alu instid0(VALU_DEP_1) | instskip(NEXT) | instid1(VALU_DEP_1)
	v_cvt_f32_f16_e32 v5, v5
	v_cmp_ngt_f32_e64 s0, 0x3f200000, |v5|
	s_and_saveexec_b32 s13, s0
	s_wait_alu 0xfffe
	s_xor_b32 s0, exec_lo, s13
	s_cbranch_execz .LBB19_5
; %bb.4:                                ;   in Loop: Header=BB19_3 Depth=1
	v_add_f32_e64 v6, |v5|, |v5|
	s_delay_alu instid0(VALU_DEP_1) | instskip(SKIP_1) | instid1(VALU_DEP_2)
	v_mul_f32_e32 v7, 0x3fb8aa3b, v6
	v_cmp_ngt_f32_e32 vcc_lo, 0xc2ce8ed0, v6
	v_rndne_f32_e32 v8, v7
	v_fma_f32 v9, 0x3fb8aa3b, v6, -v7
	s_delay_alu instid0(VALU_DEP_2) | instskip(NEXT) | instid1(VALU_DEP_2)
	v_sub_f32_e32 v7, v7, v8
	v_fmac_f32_e32 v9, 0x32a5705f, v6
	v_cvt_i32_f32_e32 v8, v8
	s_delay_alu instid0(VALU_DEP_2) | instskip(NEXT) | instid1(VALU_DEP_1)
	v_add_f32_e32 v7, v7, v9
	v_exp_f32_e32 v7, v7
	s_delay_alu instid0(TRANS32_DEP_1) | instskip(SKIP_1) | instid1(VALU_DEP_1)
	v_ldexp_f32 v7, v7, v8
	s_wait_alu 0xfffd
	v_cndmask_b32_e32 v7, 0, v7, vcc_lo
	v_cmp_nlt_f32_e32 vcc_lo, 0x42b17218, v6
	s_wait_alu 0xfffd
	s_delay_alu instid0(VALU_DEP_2) | instskip(NEXT) | instid1(VALU_DEP_1)
	v_cndmask_b32_e32 v6, 0x7f800000, v7, vcc_lo
	v_add_f32_e32 v6, 1.0, v6
	s_delay_alu instid0(VALU_DEP_1) | instskip(NEXT) | instid1(TRANS32_DEP_1)
	v_rcp_f32_e32 v6, v6
	v_fma_f32 v6, v6, -2.0, 1.0
.LBB19_5:                               ;   in Loop: Header=BB19_3 Depth=1
	s_wait_alu 0xfffe
	s_and_not1_saveexec_b32 s0, s0
	s_cbranch_execz .LBB19_2
; %bb.6:                                ;   in Loop: Header=BB19_3 Depth=1
	v_mul_f32_e32 v6, v5, v5
	s_delay_alu instid0(VALU_DEP_1) | instskip(NEXT) | instid1(VALU_DEP_1)
	v_fmaak_f32 v7, s12, v6, 0x3ca908c9
	v_fmaak_f32 v7, v6, v7, 0xbd5c1c4e
	s_delay_alu instid0(VALU_DEP_1) | instskip(NEXT) | instid1(VALU_DEP_1)
	v_fmaak_f32 v7, v6, v7, 0x3e088382
	v_fmaak_f32 v7, v6, v7, 0xbeaaaa99
	s_delay_alu instid0(VALU_DEP_1) | instskip(NEXT) | instid1(VALU_DEP_1)
	v_mul_f32_e64 v7, |v5|, v7
	v_fma_f32 v6, v6, v7, |v5|
	s_branch .LBB19_2
.LBB19_7:
	s_endpgm
	.section	.rodata,"a",@progbits
	.p2align	6, 0x0
	.amdhsa_kernel _ZN4vllm17activation_kernelIN3c104HalfETnPFT_RKS3_EXadL_ZNS_15gelu_new_kernelIS2_EES3_S5_EEEEvPS3_PS4_i
		.amdhsa_group_segment_fixed_size 0
		.amdhsa_private_segment_fixed_size 0
		.amdhsa_kernarg_size 280
		.amdhsa_user_sgpr_count 2
		.amdhsa_user_sgpr_dispatch_ptr 0
		.amdhsa_user_sgpr_queue_ptr 0
		.amdhsa_user_sgpr_kernarg_segment_ptr 1
		.amdhsa_user_sgpr_dispatch_id 0
		.amdhsa_user_sgpr_private_segment_size 0
		.amdhsa_wavefront_size32 1
		.amdhsa_uses_dynamic_stack 0
		.amdhsa_enable_private_segment 0
		.amdhsa_system_sgpr_workgroup_id_x 1
		.amdhsa_system_sgpr_workgroup_id_y 0
		.amdhsa_system_sgpr_workgroup_id_z 0
		.amdhsa_system_sgpr_workgroup_info 0
		.amdhsa_system_vgpr_workitem_id 0
		.amdhsa_next_free_vgpr 10
		.amdhsa_next_free_sgpr 14
		.amdhsa_reserve_vcc 1
		.amdhsa_float_round_mode_32 0
		.amdhsa_float_round_mode_16_64 0
		.amdhsa_float_denorm_mode_32 3
		.amdhsa_float_denorm_mode_16_64 3
		.amdhsa_fp16_overflow 0
		.amdhsa_workgroup_processor_mode 1
		.amdhsa_memory_ordered 1
		.amdhsa_forward_progress 1
		.amdhsa_inst_pref_size 5
		.amdhsa_round_robin_scheduling 0
		.amdhsa_exception_fp_ieee_invalid_op 0
		.amdhsa_exception_fp_denorm_src 0
		.amdhsa_exception_fp_ieee_div_zero 0
		.amdhsa_exception_fp_ieee_overflow 0
		.amdhsa_exception_fp_ieee_underflow 0
		.amdhsa_exception_fp_ieee_inexact 0
		.amdhsa_exception_int_div_zero 0
	.end_amdhsa_kernel
	.section	.text._ZN4vllm17activation_kernelIN3c104HalfETnPFT_RKS3_EXadL_ZNS_15gelu_new_kernelIS2_EES3_S5_EEEEvPS3_PS4_i,"axG",@progbits,_ZN4vllm17activation_kernelIN3c104HalfETnPFT_RKS3_EXadL_ZNS_15gelu_new_kernelIS2_EES3_S5_EEEEvPS3_PS4_i,comdat
.Lfunc_end19:
	.size	_ZN4vllm17activation_kernelIN3c104HalfETnPFT_RKS3_EXadL_ZNS_15gelu_new_kernelIS2_EES3_S5_EEEEvPS3_PS4_i, .Lfunc_end19-_ZN4vllm17activation_kernelIN3c104HalfETnPFT_RKS3_EXadL_ZNS_15gelu_new_kernelIS2_EES3_S5_EEEEvPS3_PS4_i
                                        ; -- End function
	.set _ZN4vllm17activation_kernelIN3c104HalfETnPFT_RKS3_EXadL_ZNS_15gelu_new_kernelIS2_EES3_S5_EEEEvPS3_PS4_i.num_vgpr, 10
	.set _ZN4vllm17activation_kernelIN3c104HalfETnPFT_RKS3_EXadL_ZNS_15gelu_new_kernelIS2_EES3_S5_EEEEvPS3_PS4_i.num_agpr, 0
	.set _ZN4vllm17activation_kernelIN3c104HalfETnPFT_RKS3_EXadL_ZNS_15gelu_new_kernelIS2_EES3_S5_EEEEvPS3_PS4_i.numbered_sgpr, 14
	.set _ZN4vllm17activation_kernelIN3c104HalfETnPFT_RKS3_EXadL_ZNS_15gelu_new_kernelIS2_EES3_S5_EEEEvPS3_PS4_i.num_named_barrier, 0
	.set _ZN4vllm17activation_kernelIN3c104HalfETnPFT_RKS3_EXadL_ZNS_15gelu_new_kernelIS2_EES3_S5_EEEEvPS3_PS4_i.private_seg_size, 0
	.set _ZN4vllm17activation_kernelIN3c104HalfETnPFT_RKS3_EXadL_ZNS_15gelu_new_kernelIS2_EES3_S5_EEEEvPS3_PS4_i.uses_vcc, 1
	.set _ZN4vllm17activation_kernelIN3c104HalfETnPFT_RKS3_EXadL_ZNS_15gelu_new_kernelIS2_EES3_S5_EEEEvPS3_PS4_i.uses_flat_scratch, 0
	.set _ZN4vllm17activation_kernelIN3c104HalfETnPFT_RKS3_EXadL_ZNS_15gelu_new_kernelIS2_EES3_S5_EEEEvPS3_PS4_i.has_dyn_sized_stack, 0
	.set _ZN4vllm17activation_kernelIN3c104HalfETnPFT_RKS3_EXadL_ZNS_15gelu_new_kernelIS2_EES3_S5_EEEEvPS3_PS4_i.has_recursion, 0
	.set _ZN4vllm17activation_kernelIN3c104HalfETnPFT_RKS3_EXadL_ZNS_15gelu_new_kernelIS2_EES3_S5_EEEEvPS3_PS4_i.has_indirect_call, 0
	.section	.AMDGPU.csdata,"",@progbits
; Kernel info:
; codeLenInByte = 608
; TotalNumSgprs: 16
; NumVgprs: 10
; ScratchSize: 0
; MemoryBound: 0
; FloatMode: 240
; IeeeMode: 1
; LDSByteSize: 0 bytes/workgroup (compile time only)
; SGPRBlocks: 0
; VGPRBlocks: 1
; NumSGPRsForWavesPerEU: 16
; NumVGPRsForWavesPerEU: 10
; Occupancy: 16
; WaveLimiterHint : 0
; COMPUTE_PGM_RSRC2:SCRATCH_EN: 0
; COMPUTE_PGM_RSRC2:USER_SGPR: 2
; COMPUTE_PGM_RSRC2:TRAP_HANDLER: 0
; COMPUTE_PGM_RSRC2:TGID_X_EN: 1
; COMPUTE_PGM_RSRC2:TGID_Y_EN: 0
; COMPUTE_PGM_RSRC2:TGID_Z_EN: 0
; COMPUTE_PGM_RSRC2:TIDIG_COMP_CNT: 0
	.section	.text._ZN4vllm17activation_kernelIN3c108BFloat16ETnPFT_RKS3_EXadL_ZNS_15gelu_new_kernelIS2_EES3_S5_EEEEvPS3_PS4_i,"axG",@progbits,_ZN4vllm17activation_kernelIN3c108BFloat16ETnPFT_RKS3_EXadL_ZNS_15gelu_new_kernelIS2_EES3_S5_EEEEvPS3_PS4_i,comdat
	.protected	_ZN4vllm17activation_kernelIN3c108BFloat16ETnPFT_RKS3_EXadL_ZNS_15gelu_new_kernelIS2_EES3_S5_EEEEvPS3_PS4_i ; -- Begin function _ZN4vllm17activation_kernelIN3c108BFloat16ETnPFT_RKS3_EXadL_ZNS_15gelu_new_kernelIS2_EES3_S5_EEEEvPS3_PS4_i
	.globl	_ZN4vllm17activation_kernelIN3c108BFloat16ETnPFT_RKS3_EXadL_ZNS_15gelu_new_kernelIS2_EES3_S5_EEEEvPS3_PS4_i
	.p2align	8
	.type	_ZN4vllm17activation_kernelIN3c108BFloat16ETnPFT_RKS3_EXadL_ZNS_15gelu_new_kernelIS2_EES3_S5_EEEEvPS3_PS4_i,@function
_ZN4vllm17activation_kernelIN3c108BFloat16ETnPFT_RKS3_EXadL_ZNS_15gelu_new_kernelIS2_EES3_S5_EEEEvPS3_PS4_i: ; @_ZN4vllm17activation_kernelIN3c108BFloat16ETnPFT_RKS3_EXadL_ZNS_15gelu_new_kernelIS2_EES3_S5_EEEEvPS3_PS4_i
; %bb.0:
	s_load_b32 s2, s[0:1], 0x10
	s_mov_b32 s3, exec_lo
	s_wait_kmcnt 0x0
	v_cmpx_gt_i32_e64 s2, v0
	s_cbranch_execz .LBB20_7
; %bb.1:
	v_mov_b32_e32 v1, 0
	s_clause 0x1
	s_load_b32 s8, s[0:1], 0x24
	s_load_b128 s[4:7], s[0:1], 0x0
	s_ashr_i32 s3, s2, 31
	s_mov_b32 s10, 0xbbbac73d
	v_mad_co_u64_u32 v[2:3], null, s2, ttmp9, v[0:1]
	s_wait_alu 0xfffe
	s_delay_alu instid0(VALU_DEP_1) | instskip(SKIP_2) | instid1(VALU_DEP_1)
	v_mad_co_u64_u32 v[3:4], null, s3, ttmp9, v[3:4]
	s_wait_kmcnt 0x0
	s_and_b32 s1, s8, 0xffff
	v_lshlrev_b64_e32 v[2:3], 1, v[2:3]
	s_mov_b32 s8, 0
	s_wait_alu 0xfffe
	s_lshl_b32 s9, s1, 1
	s_branch .LBB20_3
.LBB20_2:                               ;   in Loop: Header=BB20_3 Depth=1
	s_wait_alu 0xfffe
	s_or_b32 exec_lo, exec_lo, s0
	s_delay_alu instid0(VALU_DEP_1) | instskip(NEXT) | instid1(VALU_DEP_1)
	v_bfi_b32 v5, 0x7fffffff, v6, v5
	v_bfe_u32 v6, v5, 16, 1
	v_cmp_o_f32_e32 vcc_lo, v5, v5
	s_delay_alu instid0(VALU_DEP_2) | instskip(NEXT) | instid1(VALU_DEP_1)
	v_add3_u32 v6, v5, v6, 0x7fff
	v_and_b32_e32 v6, 0xffff0000, v6
	s_delay_alu instid0(VALU_DEP_1) | instskip(SKIP_1) | instid1(VALU_DEP_1)
	v_add_f32_e32 v6, 1.0, v6
	s_wait_alu 0xfffd
	v_dual_mul_f32 v4, 0.5, v4 :: v_dual_cndmask_b32 v5, 0x7fc00000, v6
	s_delay_alu instid0(VALU_DEP_1) | instskip(SKIP_1) | instid1(VALU_DEP_3)
	v_bfe_u32 v6, v4, 16, 1
	v_cmp_o_f32_e32 vcc_lo, v4, v4
	v_bfe_u32 v7, v5, 16, 1
	s_delay_alu instid0(VALU_DEP_3) | instskip(NEXT) | instid1(VALU_DEP_2)
	v_add3_u32 v6, v4, v6, 0x7fff
	v_add3_u32 v7, v5, v7, 0x7fff
	s_delay_alu instid0(VALU_DEP_2) | instskip(NEXT) | instid1(VALU_DEP_2)
	v_and_b32_e32 v6, 0xffff0000, v6
	v_and_b32_e32 v7, 0xffff0000, v7
	s_wait_alu 0xfffd
	s_delay_alu instid0(VALU_DEP_2)
	v_cndmask_b32_e32 v4, 0x7fc00000, v6, vcc_lo
	v_cmp_o_f32_e32 vcc_lo, v5, v5
	s_wait_alu 0xfffd
	v_cndmask_b32_e32 v5, 0x7fc00000, v7, vcc_lo
	v_add_co_u32 v0, vcc_lo, v0, s1
	s_wait_alu 0xfffd
	v_add_co_ci_u32_e64 v1, null, 0, v1, vcc_lo
	s_delay_alu instid0(VALU_DEP_3) | instskip(NEXT) | instid1(VALU_DEP_1)
	v_mul_f32_e32 v6, v4, v5
	v_bfe_u32 v4, v6, 16, 1
	v_cmp_o_f32_e64 s0, v6, v6
	s_delay_alu instid0(VALU_DEP_2) | instskip(NEXT) | instid1(VALU_DEP_1)
	v_add3_u32 v4, v6, v4, 0x7fff
	v_lshrrev_b32_e32 v7, 16, v4
	v_add_co_u32 v4, vcc_lo, s4, v2
	s_wait_alu 0xfffd
	v_add_co_ci_u32_e64 v5, null, s5, v3, vcc_lo
	v_cmp_le_i64_e32 vcc_lo, s[2:3], v[0:1]
	s_wait_alu 0xf1ff
	v_cndmask_b32_e64 v6, 0x7fc0, v7, s0
	v_add_co_u32 v2, s0, v2, s9
	s_wait_alu 0xf1ff
	v_add_co_ci_u32_e64 v3, null, 0, v3, s0
	s_or_b32 s8, vcc_lo, s8
	global_store_b16 v[4:5], v6, off
	s_wait_alu 0xfffe
	s_and_not1_b32 exec_lo, exec_lo, s8
	s_cbranch_execz .LBB20_7
.LBB20_3:                               ; =>This Inner Loop Header: Depth=1
	s_delay_alu instid0(VALU_DEP_1)
	v_add_co_u32 v4, vcc_lo, s6, v2
	s_wait_alu 0xfffd
	v_add_co_ci_u32_e64 v5, null, s7, v3, vcc_lo
	global_load_u16 v4, v[4:5], off
	s_wait_loadcnt 0x0
	v_lshlrev_b32_e32 v4, 16, v4
	s_delay_alu instid0(VALU_DEP_1) | instskip(NEXT) | instid1(VALU_DEP_1)
	v_mul_f32_e32 v5, v4, v4
	v_bfe_u32 v6, v5, 16, 1
	s_delay_alu instid0(VALU_DEP_1) | instskip(NEXT) | instid1(VALU_DEP_1)
	v_add3_u32 v6, v5, v6, 0x7fff
	v_and_b32_e32 v6, 0xffff0000, v6
	v_cmp_o_f32_e32 vcc_lo, v5, v5
	s_wait_alu 0xfffd
	s_delay_alu instid0(VALU_DEP_2) | instskip(NEXT) | instid1(VALU_DEP_1)
	v_cndmask_b32_e32 v5, 0x7fc00000, v6, vcc_lo
	v_mul_f32_e32 v5, v5, v4
	s_delay_alu instid0(VALU_DEP_1) | instskip(NEXT) | instid1(VALU_DEP_1)
	v_bfe_u32 v6, v5, 16, 1
	v_add3_u32 v6, v5, v6, 0x7fff
	s_delay_alu instid0(VALU_DEP_1) | instskip(SKIP_1) | instid1(VALU_DEP_2)
	v_and_b32_e32 v6, 0xffff0000, v6
	v_cmp_o_f32_e32 vcc_lo, v5, v5
	v_mul_f32_e32 v6, 0x3d372713, v6
	s_wait_alu 0xfffd
	s_delay_alu instid0(VALU_DEP_1) | instskip(NEXT) | instid1(VALU_DEP_1)
	v_cndmask_b32_e32 v5, 0x7fc00000, v6, vcc_lo
	v_bfe_u32 v6, v5, 16, 1
	v_cmp_o_f32_e32 vcc_lo, v5, v5
	s_delay_alu instid0(VALU_DEP_2) | instskip(NEXT) | instid1(VALU_DEP_1)
	v_add3_u32 v6, v5, v6, 0x7fff
	v_and_b32_e32 v6, 0xffff0000, v6
	s_wait_alu 0xfffd
	s_delay_alu instid0(VALU_DEP_1) | instskip(NEXT) | instid1(VALU_DEP_1)
	v_cndmask_b32_e32 v5, 0x7fc00000, v6, vcc_lo
	v_add_f32_e32 v5, v5, v4
	s_delay_alu instid0(VALU_DEP_1) | instskip(SKIP_1) | instid1(VALU_DEP_2)
	v_bfe_u32 v6, v5, 16, 1
	v_cmp_o_f32_e32 vcc_lo, v5, v5
	v_add3_u32 v6, v5, v6, 0x7fff
	s_delay_alu instid0(VALU_DEP_1) | instskip(NEXT) | instid1(VALU_DEP_1)
	v_and_b32_e32 v6, 0xffff0000, v6
	v_mul_f32_e32 v6, 0x3f4c422a, v6
	s_wait_alu 0xfffd
	s_delay_alu instid0(VALU_DEP_1) | instskip(NEXT) | instid1(VALU_DEP_1)
	v_cndmask_b32_e32 v5, 0x7fc00000, v6, vcc_lo
	v_bfe_u32 v6, v5, 16, 1
	v_cmp_o_f32_e32 vcc_lo, v5, v5
	s_delay_alu instid0(VALU_DEP_2) | instskip(NEXT) | instid1(VALU_DEP_1)
	v_add3_u32 v6, v5, v6, 0x7fff
	v_and_b32_e32 v6, 0xffff0000, v6
	s_wait_alu 0xfffd
	s_delay_alu instid0(VALU_DEP_1) | instskip(NEXT) | instid1(VALU_DEP_1)
	v_cndmask_b32_e32 v5, 0x7fc00000, v6, vcc_lo
                                        ; implicit-def: $vgpr6
	v_cmp_ngt_f32_e64 s0, 0x3f200000, |v5|
	s_and_saveexec_b32 s11, s0
	s_wait_alu 0xfffe
	s_xor_b32 s0, exec_lo, s11
	s_cbranch_execz .LBB20_5
; %bb.4:                                ;   in Loop: Header=BB20_3 Depth=1
	v_add_f32_e64 v6, |v5|, |v5|
	s_delay_alu instid0(VALU_DEP_1) | instskip(SKIP_1) | instid1(VALU_DEP_2)
	v_mul_f32_e32 v7, 0x3fb8aa3b, v6
	v_cmp_ngt_f32_e32 vcc_lo, 0xc2ce8ed0, v6
	v_rndne_f32_e32 v8, v7
	v_fma_f32 v9, 0x3fb8aa3b, v6, -v7
	s_delay_alu instid0(VALU_DEP_2) | instskip(NEXT) | instid1(VALU_DEP_2)
	v_sub_f32_e32 v7, v7, v8
	v_fmac_f32_e32 v9, 0x32a5705f, v6
	v_cvt_i32_f32_e32 v8, v8
	s_delay_alu instid0(VALU_DEP_2) | instskip(NEXT) | instid1(VALU_DEP_1)
	v_add_f32_e32 v7, v7, v9
	v_exp_f32_e32 v7, v7
	s_delay_alu instid0(TRANS32_DEP_1) | instskip(SKIP_1) | instid1(VALU_DEP_1)
	v_ldexp_f32 v7, v7, v8
	s_wait_alu 0xfffd
	v_cndmask_b32_e32 v7, 0, v7, vcc_lo
	v_cmp_nlt_f32_e32 vcc_lo, 0x42b17218, v6
	s_wait_alu 0xfffd
	s_delay_alu instid0(VALU_DEP_2) | instskip(NEXT) | instid1(VALU_DEP_1)
	v_cndmask_b32_e32 v6, 0x7f800000, v7, vcc_lo
	v_add_f32_e32 v6, 1.0, v6
	s_delay_alu instid0(VALU_DEP_1) | instskip(NEXT) | instid1(TRANS32_DEP_1)
	v_rcp_f32_e32 v6, v6
	v_fma_f32 v6, v6, -2.0, 1.0
.LBB20_5:                               ;   in Loop: Header=BB20_3 Depth=1
	s_wait_alu 0xfffe
	s_and_not1_saveexec_b32 s0, s0
	s_cbranch_execz .LBB20_2
; %bb.6:                                ;   in Loop: Header=BB20_3 Depth=1
	v_mul_f32_e32 v6, v5, v5
	s_delay_alu instid0(VALU_DEP_1) | instskip(NEXT) | instid1(VALU_DEP_1)
	v_fmaak_f32 v7, s10, v6, 0x3ca908c9
	v_fmaak_f32 v7, v6, v7, 0xbd5c1c4e
	s_delay_alu instid0(VALU_DEP_1) | instskip(NEXT) | instid1(VALU_DEP_1)
	v_fmaak_f32 v7, v6, v7, 0x3e088382
	v_fmaak_f32 v7, v6, v7, 0xbeaaaa99
	s_delay_alu instid0(VALU_DEP_1) | instskip(NEXT) | instid1(VALU_DEP_1)
	v_mul_f32_e64 v7, |v5|, v7
	v_fma_f32 v6, v6, v7, |v5|
	s_branch .LBB20_2
.LBB20_7:
	s_endpgm
	.section	.rodata,"a",@progbits
	.p2align	6, 0x0
	.amdhsa_kernel _ZN4vllm17activation_kernelIN3c108BFloat16ETnPFT_RKS3_EXadL_ZNS_15gelu_new_kernelIS2_EES3_S5_EEEEvPS3_PS4_i
		.amdhsa_group_segment_fixed_size 0
		.amdhsa_private_segment_fixed_size 0
		.amdhsa_kernarg_size 280
		.amdhsa_user_sgpr_count 2
		.amdhsa_user_sgpr_dispatch_ptr 0
		.amdhsa_user_sgpr_queue_ptr 0
		.amdhsa_user_sgpr_kernarg_segment_ptr 1
		.amdhsa_user_sgpr_dispatch_id 0
		.amdhsa_user_sgpr_private_segment_size 0
		.amdhsa_wavefront_size32 1
		.amdhsa_uses_dynamic_stack 0
		.amdhsa_enable_private_segment 0
		.amdhsa_system_sgpr_workgroup_id_x 1
		.amdhsa_system_sgpr_workgroup_id_y 0
		.amdhsa_system_sgpr_workgroup_id_z 0
		.amdhsa_system_sgpr_workgroup_info 0
		.amdhsa_system_vgpr_workitem_id 0
		.amdhsa_next_free_vgpr 10
		.amdhsa_next_free_sgpr 12
		.amdhsa_reserve_vcc 1
		.amdhsa_float_round_mode_32 0
		.amdhsa_float_round_mode_16_64 0
		.amdhsa_float_denorm_mode_32 3
		.amdhsa_float_denorm_mode_16_64 3
		.amdhsa_fp16_overflow 0
		.amdhsa_workgroup_processor_mode 1
		.amdhsa_memory_ordered 1
		.amdhsa_forward_progress 1
		.amdhsa_inst_pref_size 9
		.amdhsa_round_robin_scheduling 0
		.amdhsa_exception_fp_ieee_invalid_op 0
		.amdhsa_exception_fp_denorm_src 0
		.amdhsa_exception_fp_ieee_div_zero 0
		.amdhsa_exception_fp_ieee_overflow 0
		.amdhsa_exception_fp_ieee_underflow 0
		.amdhsa_exception_fp_ieee_inexact 0
		.amdhsa_exception_int_div_zero 0
	.end_amdhsa_kernel
	.section	.text._ZN4vllm17activation_kernelIN3c108BFloat16ETnPFT_RKS3_EXadL_ZNS_15gelu_new_kernelIS2_EES3_S5_EEEEvPS3_PS4_i,"axG",@progbits,_ZN4vllm17activation_kernelIN3c108BFloat16ETnPFT_RKS3_EXadL_ZNS_15gelu_new_kernelIS2_EES3_S5_EEEEvPS3_PS4_i,comdat
.Lfunc_end20:
	.size	_ZN4vllm17activation_kernelIN3c108BFloat16ETnPFT_RKS3_EXadL_ZNS_15gelu_new_kernelIS2_EES3_S5_EEEEvPS3_PS4_i, .Lfunc_end20-_ZN4vllm17activation_kernelIN3c108BFloat16ETnPFT_RKS3_EXadL_ZNS_15gelu_new_kernelIS2_EES3_S5_EEEEvPS3_PS4_i
                                        ; -- End function
	.set _ZN4vllm17activation_kernelIN3c108BFloat16ETnPFT_RKS3_EXadL_ZNS_15gelu_new_kernelIS2_EES3_S5_EEEEvPS3_PS4_i.num_vgpr, 10
	.set _ZN4vllm17activation_kernelIN3c108BFloat16ETnPFT_RKS3_EXadL_ZNS_15gelu_new_kernelIS2_EES3_S5_EEEEvPS3_PS4_i.num_agpr, 0
	.set _ZN4vllm17activation_kernelIN3c108BFloat16ETnPFT_RKS3_EXadL_ZNS_15gelu_new_kernelIS2_EES3_S5_EEEEvPS3_PS4_i.numbered_sgpr, 12
	.set _ZN4vllm17activation_kernelIN3c108BFloat16ETnPFT_RKS3_EXadL_ZNS_15gelu_new_kernelIS2_EES3_S5_EEEEvPS3_PS4_i.num_named_barrier, 0
	.set _ZN4vllm17activation_kernelIN3c108BFloat16ETnPFT_RKS3_EXadL_ZNS_15gelu_new_kernelIS2_EES3_S5_EEEEvPS3_PS4_i.private_seg_size, 0
	.set _ZN4vllm17activation_kernelIN3c108BFloat16ETnPFT_RKS3_EXadL_ZNS_15gelu_new_kernelIS2_EES3_S5_EEEEvPS3_PS4_i.uses_vcc, 1
	.set _ZN4vllm17activation_kernelIN3c108BFloat16ETnPFT_RKS3_EXadL_ZNS_15gelu_new_kernelIS2_EES3_S5_EEEEvPS3_PS4_i.uses_flat_scratch, 0
	.set _ZN4vllm17activation_kernelIN3c108BFloat16ETnPFT_RKS3_EXadL_ZNS_15gelu_new_kernelIS2_EES3_S5_EEEEvPS3_PS4_i.has_dyn_sized_stack, 0
	.set _ZN4vllm17activation_kernelIN3c108BFloat16ETnPFT_RKS3_EXadL_ZNS_15gelu_new_kernelIS2_EES3_S5_EEEEvPS3_PS4_i.has_recursion, 0
	.set _ZN4vllm17activation_kernelIN3c108BFloat16ETnPFT_RKS3_EXadL_ZNS_15gelu_new_kernelIS2_EES3_S5_EEEEvPS3_PS4_i.has_indirect_call, 0
	.section	.AMDGPU.csdata,"",@progbits
; Kernel info:
; codeLenInByte = 1056
; TotalNumSgprs: 14
; NumVgprs: 10
; ScratchSize: 0
; MemoryBound: 0
; FloatMode: 240
; IeeeMode: 1
; LDSByteSize: 0 bytes/workgroup (compile time only)
; SGPRBlocks: 0
; VGPRBlocks: 1
; NumSGPRsForWavesPerEU: 14
; NumVGPRsForWavesPerEU: 10
; Occupancy: 16
; WaveLimiterHint : 0
; COMPUTE_PGM_RSRC2:SCRATCH_EN: 0
; COMPUTE_PGM_RSRC2:USER_SGPR: 2
; COMPUTE_PGM_RSRC2:TRAP_HANDLER: 0
; COMPUTE_PGM_RSRC2:TGID_X_EN: 1
; COMPUTE_PGM_RSRC2:TGID_Y_EN: 0
; COMPUTE_PGM_RSRC2:TGID_Z_EN: 0
; COMPUTE_PGM_RSRC2:TIDIG_COMP_CNT: 0
	.section	.text._ZN4vllm17activation_kernelIfTnPFT_RKS1_EXadL_ZNS_16gelu_fast_kernelIfEES1_S3_EEEEvPS1_PS2_i,"axG",@progbits,_ZN4vllm17activation_kernelIfTnPFT_RKS1_EXadL_ZNS_16gelu_fast_kernelIfEES1_S3_EEEEvPS1_PS2_i,comdat
	.protected	_ZN4vllm17activation_kernelIfTnPFT_RKS1_EXadL_ZNS_16gelu_fast_kernelIfEES1_S3_EEEEvPS1_PS2_i ; -- Begin function _ZN4vllm17activation_kernelIfTnPFT_RKS1_EXadL_ZNS_16gelu_fast_kernelIfEES1_S3_EEEEvPS1_PS2_i
	.globl	_ZN4vllm17activation_kernelIfTnPFT_RKS1_EXadL_ZNS_16gelu_fast_kernelIfEES1_S3_EEEEvPS1_PS2_i
	.p2align	8
	.type	_ZN4vllm17activation_kernelIfTnPFT_RKS1_EXadL_ZNS_16gelu_fast_kernelIfEES1_S3_EEEEvPS1_PS2_i,@function
_ZN4vllm17activation_kernelIfTnPFT_RKS1_EXadL_ZNS_16gelu_fast_kernelIfEES1_S3_EEEEvPS1_PS2_i: ; @_ZN4vllm17activation_kernelIfTnPFT_RKS1_EXadL_ZNS_16gelu_fast_kernelIfEES1_S3_EEEEvPS1_PS2_i
; %bb.0:
	s_load_b32 s2, s[0:1], 0x10
	s_mov_b32 s3, exec_lo
	s_wait_kmcnt 0x0
	v_cmpx_gt_i32_e64 s2, v0
	s_cbranch_execz .LBB21_7
; %bb.1:
	v_mov_b32_e32 v1, 0
	s_clause 0x1
	s_load_b32 s8, s[0:1], 0x24
	s_load_b128 s[4:7], s[0:1], 0x0
	s_ashr_i32 s3, s2, 31
	s_mov_b32 s10, 0xbbbac73d
	v_mad_co_u64_u32 v[2:3], null, s2, ttmp9, v[0:1]
	s_wait_alu 0xfffe
	s_delay_alu instid0(VALU_DEP_1) | instskip(SKIP_2) | instid1(VALU_DEP_1)
	v_mad_co_u64_u32 v[3:4], null, s3, ttmp9, v[3:4]
	s_wait_kmcnt 0x0
	s_and_b32 s1, s8, 0xffff
	v_lshlrev_b64_e32 v[2:3], 2, v[2:3]
	s_mov_b32 s8, 0
	s_wait_alu 0xfffe
	s_lshl_b32 s9, s1, 2
	s_branch .LBB21_3
.LBB21_2:                               ;   in Loop: Header=BB21_3 Depth=1
	s_wait_alu 0xfffe
	s_or_b32 exec_lo, exec_lo, s0
	s_delay_alu instid0(VALU_DEP_1)
	v_bfi_b32 v5, 0x7fffffff, v6, v5
	v_mul_f32_e32 v4, 0.5, v4
	v_add_co_u32 v0, vcc_lo, v0, s1
	s_wait_alu 0xfffd
	v_add_co_ci_u32_e64 v1, null, 0, v1, vcc_lo
	v_add_f32_e32 v5, 1.0, v5
	s_delay_alu instid0(VALU_DEP_1)
	v_mul_f32_e32 v6, v4, v5
	v_add_co_u32 v4, vcc_lo, s4, v2
	s_wait_alu 0xfffd
	v_add_co_ci_u32_e64 v5, null, s5, v3, vcc_lo
	v_cmp_le_i64_e32 vcc_lo, s[2:3], v[0:1]
	v_add_co_u32 v2, s0, v2, s9
	s_wait_alu 0xf1ff
	v_add_co_ci_u32_e64 v3, null, 0, v3, s0
	global_store_b32 v[4:5], v6, off
	s_or_b32 s8, vcc_lo, s8
	s_wait_alu 0xfffe
	s_and_not1_b32 exec_lo, exec_lo, s8
	s_cbranch_execz .LBB21_7
.LBB21_3:                               ; =>This Inner Loop Header: Depth=1
	s_delay_alu instid0(VALU_DEP_1)
	v_add_co_u32 v4, vcc_lo, s6, v2
	s_wait_alu 0xfffd
	v_add_co_ci_u32_e64 v5, null, s7, v3, vcc_lo
	global_load_b32 v4, v[4:5], off
	s_wait_loadcnt 0x0
	v_mul_f32_e32 v5, 0x3d372713, v4
	v_mul_f32_e32 v6, 0x3f4c422a, v4
	s_delay_alu instid0(VALU_DEP_2) | instskip(NEXT) | instid1(VALU_DEP_1)
	v_fma_f32 v5, v4, v5, 1.0
	v_mul_f32_e32 v5, v6, v5
                                        ; implicit-def: $vgpr6
	s_delay_alu instid0(VALU_DEP_1)
	v_cmp_ngt_f32_e64 s0, 0x3f200000, |v5|
	s_and_saveexec_b32 s11, s0
	s_wait_alu 0xfffe
	s_xor_b32 s0, exec_lo, s11
	s_cbranch_execz .LBB21_5
; %bb.4:                                ;   in Loop: Header=BB21_3 Depth=1
	v_add_f32_e64 v6, |v5|, |v5|
	s_delay_alu instid0(VALU_DEP_1) | instskip(SKIP_1) | instid1(VALU_DEP_2)
	v_mul_f32_e32 v7, 0x3fb8aa3b, v6
	v_cmp_ngt_f32_e32 vcc_lo, 0xc2ce8ed0, v6
	v_rndne_f32_e32 v8, v7
	v_fma_f32 v9, 0x3fb8aa3b, v6, -v7
	s_delay_alu instid0(VALU_DEP_2) | instskip(NEXT) | instid1(VALU_DEP_2)
	v_sub_f32_e32 v7, v7, v8
	v_fmac_f32_e32 v9, 0x32a5705f, v6
	v_cvt_i32_f32_e32 v8, v8
	s_delay_alu instid0(VALU_DEP_2) | instskip(NEXT) | instid1(VALU_DEP_1)
	v_add_f32_e32 v7, v7, v9
	v_exp_f32_e32 v7, v7
	s_delay_alu instid0(TRANS32_DEP_1) | instskip(SKIP_1) | instid1(VALU_DEP_1)
	v_ldexp_f32 v7, v7, v8
	s_wait_alu 0xfffd
	v_cndmask_b32_e32 v7, 0, v7, vcc_lo
	v_cmp_nlt_f32_e32 vcc_lo, 0x42b17218, v6
	s_wait_alu 0xfffd
	s_delay_alu instid0(VALU_DEP_2) | instskip(NEXT) | instid1(VALU_DEP_1)
	v_cndmask_b32_e32 v6, 0x7f800000, v7, vcc_lo
	v_add_f32_e32 v6, 1.0, v6
	s_delay_alu instid0(VALU_DEP_1) | instskip(NEXT) | instid1(TRANS32_DEP_1)
	v_rcp_f32_e32 v6, v6
	v_fma_f32 v6, v6, -2.0, 1.0
.LBB21_5:                               ;   in Loop: Header=BB21_3 Depth=1
	s_wait_alu 0xfffe
	s_and_not1_saveexec_b32 s0, s0
	s_cbranch_execz .LBB21_2
; %bb.6:                                ;   in Loop: Header=BB21_3 Depth=1
	v_mul_f32_e32 v6, v5, v5
	s_delay_alu instid0(VALU_DEP_1) | instskip(NEXT) | instid1(VALU_DEP_1)
	v_fmaak_f32 v7, s10, v6, 0x3ca908c9
	v_fmaak_f32 v7, v6, v7, 0xbd5c1c4e
	s_delay_alu instid0(VALU_DEP_1) | instskip(NEXT) | instid1(VALU_DEP_1)
	v_fmaak_f32 v7, v6, v7, 0x3e088382
	v_fmaak_f32 v7, v6, v7, 0xbeaaaa99
	s_delay_alu instid0(VALU_DEP_1) | instskip(NEXT) | instid1(VALU_DEP_1)
	v_mul_f32_e64 v7, |v5|, v7
	v_fma_f32 v6, v6, v7, |v5|
	s_branch .LBB21_2
.LBB21_7:
	s_endpgm
	.section	.rodata,"a",@progbits
	.p2align	6, 0x0
	.amdhsa_kernel _ZN4vllm17activation_kernelIfTnPFT_RKS1_EXadL_ZNS_16gelu_fast_kernelIfEES1_S3_EEEEvPS1_PS2_i
		.amdhsa_group_segment_fixed_size 0
		.amdhsa_private_segment_fixed_size 0
		.amdhsa_kernarg_size 280
		.amdhsa_user_sgpr_count 2
		.amdhsa_user_sgpr_dispatch_ptr 0
		.amdhsa_user_sgpr_queue_ptr 0
		.amdhsa_user_sgpr_kernarg_segment_ptr 1
		.amdhsa_user_sgpr_dispatch_id 0
		.amdhsa_user_sgpr_private_segment_size 0
		.amdhsa_wavefront_size32 1
		.amdhsa_uses_dynamic_stack 0
		.amdhsa_enable_private_segment 0
		.amdhsa_system_sgpr_workgroup_id_x 1
		.amdhsa_system_sgpr_workgroup_id_y 0
		.amdhsa_system_sgpr_workgroup_id_z 0
		.amdhsa_system_sgpr_workgroup_info 0
		.amdhsa_system_vgpr_workitem_id 0
		.amdhsa_next_free_vgpr 10
		.amdhsa_next_free_sgpr 12
		.amdhsa_reserve_vcc 1
		.amdhsa_float_round_mode_32 0
		.amdhsa_float_round_mode_16_64 0
		.amdhsa_float_denorm_mode_32 3
		.amdhsa_float_denorm_mode_16_64 3
		.amdhsa_fp16_overflow 0
		.amdhsa_workgroup_processor_mode 1
		.amdhsa_memory_ordered 1
		.amdhsa_forward_progress 1
		.amdhsa_inst_pref_size 5
		.amdhsa_round_robin_scheduling 0
		.amdhsa_exception_fp_ieee_invalid_op 0
		.amdhsa_exception_fp_denorm_src 0
		.amdhsa_exception_fp_ieee_div_zero 0
		.amdhsa_exception_fp_ieee_overflow 0
		.amdhsa_exception_fp_ieee_underflow 0
		.amdhsa_exception_fp_ieee_inexact 0
		.amdhsa_exception_int_div_zero 0
	.end_amdhsa_kernel
	.section	.text._ZN4vllm17activation_kernelIfTnPFT_RKS1_EXadL_ZNS_16gelu_fast_kernelIfEES1_S3_EEEEvPS1_PS2_i,"axG",@progbits,_ZN4vllm17activation_kernelIfTnPFT_RKS1_EXadL_ZNS_16gelu_fast_kernelIfEES1_S3_EEEEvPS1_PS2_i,comdat
.Lfunc_end21:
	.size	_ZN4vllm17activation_kernelIfTnPFT_RKS1_EXadL_ZNS_16gelu_fast_kernelIfEES1_S3_EEEEvPS1_PS2_i, .Lfunc_end21-_ZN4vllm17activation_kernelIfTnPFT_RKS1_EXadL_ZNS_16gelu_fast_kernelIfEES1_S3_EEEEvPS1_PS2_i
                                        ; -- End function
	.set _ZN4vllm17activation_kernelIfTnPFT_RKS1_EXadL_ZNS_16gelu_fast_kernelIfEES1_S3_EEEEvPS1_PS2_i.num_vgpr, 10
	.set _ZN4vllm17activation_kernelIfTnPFT_RKS1_EXadL_ZNS_16gelu_fast_kernelIfEES1_S3_EEEEvPS1_PS2_i.num_agpr, 0
	.set _ZN4vllm17activation_kernelIfTnPFT_RKS1_EXadL_ZNS_16gelu_fast_kernelIfEES1_S3_EEEEvPS1_PS2_i.numbered_sgpr, 12
	.set _ZN4vllm17activation_kernelIfTnPFT_RKS1_EXadL_ZNS_16gelu_fast_kernelIfEES1_S3_EEEEvPS1_PS2_i.num_named_barrier, 0
	.set _ZN4vllm17activation_kernelIfTnPFT_RKS1_EXadL_ZNS_16gelu_fast_kernelIfEES1_S3_EEEEvPS1_PS2_i.private_seg_size, 0
	.set _ZN4vllm17activation_kernelIfTnPFT_RKS1_EXadL_ZNS_16gelu_fast_kernelIfEES1_S3_EEEEvPS1_PS2_i.uses_vcc, 1
	.set _ZN4vllm17activation_kernelIfTnPFT_RKS1_EXadL_ZNS_16gelu_fast_kernelIfEES1_S3_EEEEvPS1_PS2_i.uses_flat_scratch, 0
	.set _ZN4vllm17activation_kernelIfTnPFT_RKS1_EXadL_ZNS_16gelu_fast_kernelIfEES1_S3_EEEEvPS1_PS2_i.has_dyn_sized_stack, 0
	.set _ZN4vllm17activation_kernelIfTnPFT_RKS1_EXadL_ZNS_16gelu_fast_kernelIfEES1_S3_EEEEvPS1_PS2_i.has_recursion, 0
	.set _ZN4vllm17activation_kernelIfTnPFT_RKS1_EXadL_ZNS_16gelu_fast_kernelIfEES1_S3_EEEEvPS1_PS2_i.has_indirect_call, 0
	.section	.AMDGPU.csdata,"",@progbits
; Kernel info:
; codeLenInByte = 580
; TotalNumSgprs: 14
; NumVgprs: 10
; ScratchSize: 0
; MemoryBound: 0
; FloatMode: 240
; IeeeMode: 1
; LDSByteSize: 0 bytes/workgroup (compile time only)
; SGPRBlocks: 0
; VGPRBlocks: 1
; NumSGPRsForWavesPerEU: 14
; NumVGPRsForWavesPerEU: 10
; Occupancy: 16
; WaveLimiterHint : 0
; COMPUTE_PGM_RSRC2:SCRATCH_EN: 0
; COMPUTE_PGM_RSRC2:USER_SGPR: 2
; COMPUTE_PGM_RSRC2:TRAP_HANDLER: 0
; COMPUTE_PGM_RSRC2:TGID_X_EN: 1
; COMPUTE_PGM_RSRC2:TGID_Y_EN: 0
; COMPUTE_PGM_RSRC2:TGID_Z_EN: 0
; COMPUTE_PGM_RSRC2:TIDIG_COMP_CNT: 0
	.section	.text._ZN4vllm17activation_kernelIN3c104HalfETnPFT_RKS3_EXadL_ZNS_16gelu_fast_kernelIS2_EES3_S5_EEEEvPS3_PS4_i,"axG",@progbits,_ZN4vllm17activation_kernelIN3c104HalfETnPFT_RKS3_EXadL_ZNS_16gelu_fast_kernelIS2_EES3_S5_EEEEvPS3_PS4_i,comdat
	.protected	_ZN4vllm17activation_kernelIN3c104HalfETnPFT_RKS3_EXadL_ZNS_16gelu_fast_kernelIS2_EES3_S5_EEEEvPS3_PS4_i ; -- Begin function _ZN4vllm17activation_kernelIN3c104HalfETnPFT_RKS3_EXadL_ZNS_16gelu_fast_kernelIS2_EES3_S5_EEEEvPS3_PS4_i
	.globl	_ZN4vllm17activation_kernelIN3c104HalfETnPFT_RKS3_EXadL_ZNS_16gelu_fast_kernelIS2_EES3_S5_EEEEvPS3_PS4_i
	.p2align	8
	.type	_ZN4vllm17activation_kernelIN3c104HalfETnPFT_RKS3_EXadL_ZNS_16gelu_fast_kernelIS2_EES3_S5_EEEEvPS3_PS4_i,@function
_ZN4vllm17activation_kernelIN3c104HalfETnPFT_RKS3_EXadL_ZNS_16gelu_fast_kernelIS2_EES3_S5_EEEEvPS3_PS4_i: ; @_ZN4vllm17activation_kernelIN3c104HalfETnPFT_RKS3_EXadL_ZNS_16gelu_fast_kernelIS2_EES3_S5_EEEEvPS3_PS4_i
; %bb.0:
	s_load_b32 s2, s[0:1], 0x10
	s_mov_b32 s3, exec_lo
	s_wait_kmcnt 0x0
	v_cmpx_gt_i32_e64 s2, v0
	s_cbranch_execz .LBB22_7
; %bb.1:
	v_mov_b32_e32 v1, 0
	s_clause 0x1
	s_load_b32 s8, s[0:1], 0x24
	s_load_b128 s[4:7], s[0:1], 0x0
	s_ashr_i32 s3, s2, 31
	s_mov_b32 s1, 0
	s_mov_b32 s10, 0x3f4c422a
	v_mad_co_u64_u32 v[2:3], null, s2, ttmp9, v[0:1]
	s_mov_b32 s11, 0x3d372713
	s_mov_b32 s12, 0xbbbac73d
	s_wait_alu 0xfffe
	v_mad_co_u64_u32 v[3:4], null, s3, ttmp9, v[3:4]
	s_wait_kmcnt 0x0
	s_and_b32 s8, s8, 0xffff
	s_delay_alu instid0(VALU_DEP_1)
	v_lshlrev_b64_e32 v[2:3], 1, v[2:3]
	s_lshl_b32 s9, s8, 1
	s_branch .LBB22_3
.LBB22_2:                               ;   in Loop: Header=BB22_3 Depth=1
	s_wait_alu 0xfffe
	s_or_b32 exec_lo, exec_lo, s0
	s_delay_alu instid0(VALU_DEP_1)
	v_cvt_f16_f32_e32 v6, v6
	v_lshrrev_b32_e32 v5, 16, v5
	v_mul_f16_e32 v7, 0.5, v4
	v_add_co_u32 v0, vcc_lo, v0, s8
	s_wait_alu 0xfffd
	v_add_co_ci_u32_e64 v1, null, 0, v1, vcc_lo
	v_bfi_b32 v4, 0x7fff, v6, v5
	s_delay_alu instid0(VALU_DEP_1)
	v_add_f16_e32 v6, 1.0, v4
	v_add_co_u32 v4, vcc_lo, s4, v2
	s_wait_alu 0xfffd
	v_add_co_ci_u32_e64 v5, null, s5, v3, vcc_lo
	v_cmp_le_i64_e32 vcc_lo, s[2:3], v[0:1]
	v_add_co_u32 v2, s0, v2, s9
	v_mul_f16_e32 v6, v7, v6
	s_wait_alu 0xf1ff
	v_add_co_ci_u32_e64 v3, null, 0, v3, s0
	s_or_b32 s1, vcc_lo, s1
	global_store_b16 v[4:5], v6, off
	s_wait_alu 0xfffe
	s_and_not1_b32 exec_lo, exec_lo, s1
	s_cbranch_execz .LBB22_7
.LBB22_3:                               ; =>This Inner Loop Header: Depth=1
	s_delay_alu instid0(VALU_DEP_1) | instskip(SKIP_1) | instid1(VALU_DEP_2)
	v_add_co_u32 v4, vcc_lo, s6, v2
	s_wait_alu 0xfffd
	v_add_co_ci_u32_e64 v5, null, s7, v3, vcc_lo
	global_load_u16 v4, v[4:5], off
	s_wait_loadcnt 0x0
	v_fma_mixlo_f16 v5, v4, s11, 0 op_sel_hi:[1,0,0]
	v_fma_mixlo_f16 v6, v4, s10, 0 op_sel_hi:[1,0,0]
	s_delay_alu instid0(VALU_DEP_2) | instskip(NEXT) | instid1(VALU_DEP_1)
	v_fma_f16 v5, v4, v5, 1.0
	v_mul_f16_e32 v5, v5, v6
                                        ; implicit-def: $vgpr6
	s_delay_alu instid0(VALU_DEP_1) | instskip(NEXT) | instid1(VALU_DEP_1)
	v_cvt_f32_f16_e32 v5, v5
	v_cmp_ngt_f32_e64 s0, 0x3f200000, |v5|
	s_and_saveexec_b32 s13, s0
	s_wait_alu 0xfffe
	s_xor_b32 s0, exec_lo, s13
	s_cbranch_execz .LBB22_5
; %bb.4:                                ;   in Loop: Header=BB22_3 Depth=1
	v_add_f32_e64 v6, |v5|, |v5|
	s_delay_alu instid0(VALU_DEP_1) | instskip(SKIP_1) | instid1(VALU_DEP_2)
	v_mul_f32_e32 v7, 0x3fb8aa3b, v6
	v_cmp_ngt_f32_e32 vcc_lo, 0xc2ce8ed0, v6
	v_rndne_f32_e32 v8, v7
	v_fma_f32 v9, 0x3fb8aa3b, v6, -v7
	s_delay_alu instid0(VALU_DEP_2) | instskip(NEXT) | instid1(VALU_DEP_2)
	v_sub_f32_e32 v7, v7, v8
	v_fmac_f32_e32 v9, 0x32a5705f, v6
	v_cvt_i32_f32_e32 v8, v8
	s_delay_alu instid0(VALU_DEP_2) | instskip(NEXT) | instid1(VALU_DEP_1)
	v_add_f32_e32 v7, v7, v9
	v_exp_f32_e32 v7, v7
	s_delay_alu instid0(TRANS32_DEP_1) | instskip(SKIP_1) | instid1(VALU_DEP_1)
	v_ldexp_f32 v7, v7, v8
	s_wait_alu 0xfffd
	v_cndmask_b32_e32 v7, 0, v7, vcc_lo
	v_cmp_nlt_f32_e32 vcc_lo, 0x42b17218, v6
	s_wait_alu 0xfffd
	s_delay_alu instid0(VALU_DEP_2) | instskip(NEXT) | instid1(VALU_DEP_1)
	v_cndmask_b32_e32 v6, 0x7f800000, v7, vcc_lo
	v_add_f32_e32 v6, 1.0, v6
	s_delay_alu instid0(VALU_DEP_1) | instskip(NEXT) | instid1(TRANS32_DEP_1)
	v_rcp_f32_e32 v6, v6
	v_fma_f32 v6, v6, -2.0, 1.0
.LBB22_5:                               ;   in Loop: Header=BB22_3 Depth=1
	s_wait_alu 0xfffe
	s_and_not1_saveexec_b32 s0, s0
	s_cbranch_execz .LBB22_2
; %bb.6:                                ;   in Loop: Header=BB22_3 Depth=1
	v_mul_f32_e32 v6, v5, v5
	s_delay_alu instid0(VALU_DEP_1) | instskip(NEXT) | instid1(VALU_DEP_1)
	v_fmaak_f32 v7, s12, v6, 0x3ca908c9
	v_fmaak_f32 v7, v6, v7, 0xbd5c1c4e
	s_delay_alu instid0(VALU_DEP_1) | instskip(NEXT) | instid1(VALU_DEP_1)
	v_fmaak_f32 v7, v6, v7, 0x3e088382
	v_fmaak_f32 v7, v6, v7, 0xbeaaaa99
	s_delay_alu instid0(VALU_DEP_1) | instskip(NEXT) | instid1(VALU_DEP_1)
	v_mul_f32_e64 v7, |v5|, v7
	v_fma_f32 v6, v6, v7, |v5|
	s_branch .LBB22_2
.LBB22_7:
	s_endpgm
	.section	.rodata,"a",@progbits
	.p2align	6, 0x0
	.amdhsa_kernel _ZN4vllm17activation_kernelIN3c104HalfETnPFT_RKS3_EXadL_ZNS_16gelu_fast_kernelIS2_EES3_S5_EEEEvPS3_PS4_i
		.amdhsa_group_segment_fixed_size 0
		.amdhsa_private_segment_fixed_size 0
		.amdhsa_kernarg_size 280
		.amdhsa_user_sgpr_count 2
		.amdhsa_user_sgpr_dispatch_ptr 0
		.amdhsa_user_sgpr_queue_ptr 0
		.amdhsa_user_sgpr_kernarg_segment_ptr 1
		.amdhsa_user_sgpr_dispatch_id 0
		.amdhsa_user_sgpr_private_segment_size 0
		.amdhsa_wavefront_size32 1
		.amdhsa_uses_dynamic_stack 0
		.amdhsa_enable_private_segment 0
		.amdhsa_system_sgpr_workgroup_id_x 1
		.amdhsa_system_sgpr_workgroup_id_y 0
		.amdhsa_system_sgpr_workgroup_id_z 0
		.amdhsa_system_sgpr_workgroup_info 0
		.amdhsa_system_vgpr_workitem_id 0
		.amdhsa_next_free_vgpr 10
		.amdhsa_next_free_sgpr 14
		.amdhsa_reserve_vcc 1
		.amdhsa_float_round_mode_32 0
		.amdhsa_float_round_mode_16_64 0
		.amdhsa_float_denorm_mode_32 3
		.amdhsa_float_denorm_mode_16_64 3
		.amdhsa_fp16_overflow 0
		.amdhsa_workgroup_processor_mode 1
		.amdhsa_memory_ordered 1
		.amdhsa_forward_progress 1
		.amdhsa_inst_pref_size 5
		.amdhsa_round_robin_scheduling 0
		.amdhsa_exception_fp_ieee_invalid_op 0
		.amdhsa_exception_fp_denorm_src 0
		.amdhsa_exception_fp_ieee_div_zero 0
		.amdhsa_exception_fp_ieee_overflow 0
		.amdhsa_exception_fp_ieee_underflow 0
		.amdhsa_exception_fp_ieee_inexact 0
		.amdhsa_exception_int_div_zero 0
	.end_amdhsa_kernel
	.section	.text._ZN4vllm17activation_kernelIN3c104HalfETnPFT_RKS3_EXadL_ZNS_16gelu_fast_kernelIS2_EES3_S5_EEEEvPS3_PS4_i,"axG",@progbits,_ZN4vllm17activation_kernelIN3c104HalfETnPFT_RKS3_EXadL_ZNS_16gelu_fast_kernelIS2_EES3_S5_EEEEvPS3_PS4_i,comdat
.Lfunc_end22:
	.size	_ZN4vllm17activation_kernelIN3c104HalfETnPFT_RKS3_EXadL_ZNS_16gelu_fast_kernelIS2_EES3_S5_EEEEvPS3_PS4_i, .Lfunc_end22-_ZN4vllm17activation_kernelIN3c104HalfETnPFT_RKS3_EXadL_ZNS_16gelu_fast_kernelIS2_EES3_S5_EEEEvPS3_PS4_i
                                        ; -- End function
	.set _ZN4vllm17activation_kernelIN3c104HalfETnPFT_RKS3_EXadL_ZNS_16gelu_fast_kernelIS2_EES3_S5_EEEEvPS3_PS4_i.num_vgpr, 10
	.set _ZN4vllm17activation_kernelIN3c104HalfETnPFT_RKS3_EXadL_ZNS_16gelu_fast_kernelIS2_EES3_S5_EEEEvPS3_PS4_i.num_agpr, 0
	.set _ZN4vllm17activation_kernelIN3c104HalfETnPFT_RKS3_EXadL_ZNS_16gelu_fast_kernelIS2_EES3_S5_EEEEvPS3_PS4_i.numbered_sgpr, 14
	.set _ZN4vllm17activation_kernelIN3c104HalfETnPFT_RKS3_EXadL_ZNS_16gelu_fast_kernelIS2_EES3_S5_EEEEvPS3_PS4_i.num_named_barrier, 0
	.set _ZN4vllm17activation_kernelIN3c104HalfETnPFT_RKS3_EXadL_ZNS_16gelu_fast_kernelIS2_EES3_S5_EEEEvPS3_PS4_i.private_seg_size, 0
	.set _ZN4vllm17activation_kernelIN3c104HalfETnPFT_RKS3_EXadL_ZNS_16gelu_fast_kernelIS2_EES3_S5_EEEEvPS3_PS4_i.uses_vcc, 1
	.set _ZN4vllm17activation_kernelIN3c104HalfETnPFT_RKS3_EXadL_ZNS_16gelu_fast_kernelIS2_EES3_S5_EEEEvPS3_PS4_i.uses_flat_scratch, 0
	.set _ZN4vllm17activation_kernelIN3c104HalfETnPFT_RKS3_EXadL_ZNS_16gelu_fast_kernelIS2_EES3_S5_EEEEvPS3_PS4_i.has_dyn_sized_stack, 0
	.set _ZN4vllm17activation_kernelIN3c104HalfETnPFT_RKS3_EXadL_ZNS_16gelu_fast_kernelIS2_EES3_S5_EEEEvPS3_PS4_i.has_recursion, 0
	.set _ZN4vllm17activation_kernelIN3c104HalfETnPFT_RKS3_EXadL_ZNS_16gelu_fast_kernelIS2_EES3_S5_EEEEvPS3_PS4_i.has_indirect_call, 0
	.section	.AMDGPU.csdata,"",@progbits
; Kernel info:
; codeLenInByte = 604
; TotalNumSgprs: 16
; NumVgprs: 10
; ScratchSize: 0
; MemoryBound: 0
; FloatMode: 240
; IeeeMode: 1
; LDSByteSize: 0 bytes/workgroup (compile time only)
; SGPRBlocks: 0
; VGPRBlocks: 1
; NumSGPRsForWavesPerEU: 16
; NumVGPRsForWavesPerEU: 10
; Occupancy: 16
; WaveLimiterHint : 0
; COMPUTE_PGM_RSRC2:SCRATCH_EN: 0
; COMPUTE_PGM_RSRC2:USER_SGPR: 2
; COMPUTE_PGM_RSRC2:TRAP_HANDLER: 0
; COMPUTE_PGM_RSRC2:TGID_X_EN: 1
; COMPUTE_PGM_RSRC2:TGID_Y_EN: 0
; COMPUTE_PGM_RSRC2:TGID_Z_EN: 0
; COMPUTE_PGM_RSRC2:TIDIG_COMP_CNT: 0
	.section	.text._ZN4vllm17activation_kernelIN3c108BFloat16ETnPFT_RKS3_EXadL_ZNS_16gelu_fast_kernelIS2_EES3_S5_EEEEvPS3_PS4_i,"axG",@progbits,_ZN4vllm17activation_kernelIN3c108BFloat16ETnPFT_RKS3_EXadL_ZNS_16gelu_fast_kernelIS2_EES3_S5_EEEEvPS3_PS4_i,comdat
	.protected	_ZN4vllm17activation_kernelIN3c108BFloat16ETnPFT_RKS3_EXadL_ZNS_16gelu_fast_kernelIS2_EES3_S5_EEEEvPS3_PS4_i ; -- Begin function _ZN4vllm17activation_kernelIN3c108BFloat16ETnPFT_RKS3_EXadL_ZNS_16gelu_fast_kernelIS2_EES3_S5_EEEEvPS3_PS4_i
	.globl	_ZN4vllm17activation_kernelIN3c108BFloat16ETnPFT_RKS3_EXadL_ZNS_16gelu_fast_kernelIS2_EES3_S5_EEEEvPS3_PS4_i
	.p2align	8
	.type	_ZN4vllm17activation_kernelIN3c108BFloat16ETnPFT_RKS3_EXadL_ZNS_16gelu_fast_kernelIS2_EES3_S5_EEEEvPS3_PS4_i,@function
_ZN4vllm17activation_kernelIN3c108BFloat16ETnPFT_RKS3_EXadL_ZNS_16gelu_fast_kernelIS2_EES3_S5_EEEEvPS3_PS4_i: ; @_ZN4vllm17activation_kernelIN3c108BFloat16ETnPFT_RKS3_EXadL_ZNS_16gelu_fast_kernelIS2_EES3_S5_EEEEvPS3_PS4_i
; %bb.0:
	s_load_b32 s2, s[0:1], 0x10
	s_mov_b32 s3, exec_lo
	s_wait_kmcnt 0x0
	v_cmpx_gt_i32_e64 s2, v0
	s_cbranch_execz .LBB23_7
; %bb.1:
	v_mov_b32_e32 v1, 0
	s_clause 0x1
	s_load_b32 s8, s[0:1], 0x24
	s_load_b128 s[4:7], s[0:1], 0x0
	s_ashr_i32 s3, s2, 31
	s_mov_b32 s10, 0xbbbac73d
	v_mad_co_u64_u32 v[2:3], null, s2, ttmp9, v[0:1]
	s_wait_alu 0xfffe
	s_delay_alu instid0(VALU_DEP_1) | instskip(SKIP_2) | instid1(VALU_DEP_1)
	v_mad_co_u64_u32 v[3:4], null, s3, ttmp9, v[3:4]
	s_wait_kmcnt 0x0
	s_and_b32 s1, s8, 0xffff
	v_lshlrev_b64_e32 v[2:3], 1, v[2:3]
	s_mov_b32 s8, 0
	s_wait_alu 0xfffe
	s_lshl_b32 s9, s1, 1
	s_branch .LBB23_3
.LBB23_2:                               ;   in Loop: Header=BB23_3 Depth=1
	s_wait_alu 0xfffe
	s_or_b32 exec_lo, exec_lo, s0
	s_delay_alu instid0(VALU_DEP_1) | instskip(NEXT) | instid1(VALU_DEP_1)
	v_bfi_b32 v5, 0x7fffffff, v6, v5
	v_bfe_u32 v6, v5, 16, 1
	v_cmp_o_f32_e32 vcc_lo, v5, v5
	s_delay_alu instid0(VALU_DEP_2) | instskip(NEXT) | instid1(VALU_DEP_1)
	v_add3_u32 v6, v5, v6, 0x7fff
	v_and_b32_e32 v6, 0xffff0000, v6
	s_delay_alu instid0(VALU_DEP_1) | instskip(SKIP_1) | instid1(VALU_DEP_1)
	v_add_f32_e32 v6, 1.0, v6
	s_wait_alu 0xfffd
	v_dual_mul_f32 v4, 0.5, v4 :: v_dual_cndmask_b32 v5, 0x7fc00000, v6
	s_delay_alu instid0(VALU_DEP_1) | instskip(SKIP_1) | instid1(VALU_DEP_3)
	v_bfe_u32 v6, v4, 16, 1
	v_cmp_o_f32_e32 vcc_lo, v4, v4
	v_bfe_u32 v7, v5, 16, 1
	s_delay_alu instid0(VALU_DEP_3) | instskip(NEXT) | instid1(VALU_DEP_2)
	v_add3_u32 v6, v4, v6, 0x7fff
	v_add3_u32 v7, v5, v7, 0x7fff
	s_delay_alu instid0(VALU_DEP_2) | instskip(NEXT) | instid1(VALU_DEP_2)
	v_and_b32_e32 v6, 0xffff0000, v6
	v_and_b32_e32 v7, 0xffff0000, v7
	s_wait_alu 0xfffd
	s_delay_alu instid0(VALU_DEP_2)
	v_cndmask_b32_e32 v4, 0x7fc00000, v6, vcc_lo
	v_cmp_o_f32_e32 vcc_lo, v5, v5
	s_wait_alu 0xfffd
	v_cndmask_b32_e32 v5, 0x7fc00000, v7, vcc_lo
	v_add_co_u32 v0, vcc_lo, v0, s1
	s_wait_alu 0xfffd
	v_add_co_ci_u32_e64 v1, null, 0, v1, vcc_lo
	s_delay_alu instid0(VALU_DEP_3) | instskip(NEXT) | instid1(VALU_DEP_1)
	v_mul_f32_e32 v6, v4, v5
	v_bfe_u32 v4, v6, 16, 1
	v_cmp_o_f32_e64 s0, v6, v6
	s_delay_alu instid0(VALU_DEP_2) | instskip(NEXT) | instid1(VALU_DEP_1)
	v_add3_u32 v4, v6, v4, 0x7fff
	v_lshrrev_b32_e32 v7, 16, v4
	v_add_co_u32 v4, vcc_lo, s4, v2
	s_wait_alu 0xfffd
	v_add_co_ci_u32_e64 v5, null, s5, v3, vcc_lo
	v_cmp_le_i64_e32 vcc_lo, s[2:3], v[0:1]
	s_wait_alu 0xf1ff
	v_cndmask_b32_e64 v6, 0x7fc0, v7, s0
	v_add_co_u32 v2, s0, v2, s9
	s_wait_alu 0xf1ff
	v_add_co_ci_u32_e64 v3, null, 0, v3, s0
	s_or_b32 s8, vcc_lo, s8
	global_store_b16 v[4:5], v6, off
	s_wait_alu 0xfffe
	s_and_not1_b32 exec_lo, exec_lo, s8
	s_cbranch_execz .LBB23_7
.LBB23_3:                               ; =>This Inner Loop Header: Depth=1
	s_delay_alu instid0(VALU_DEP_1)
	v_add_co_u32 v4, vcc_lo, s6, v2
	s_wait_alu 0xfffd
	v_add_co_ci_u32_e64 v5, null, s7, v3, vcc_lo
	global_load_u16 v4, v[4:5], off
	s_wait_loadcnt 0x0
	v_lshlrev_b32_e32 v4, 16, v4
	s_delay_alu instid0(VALU_DEP_1) | instskip(NEXT) | instid1(VALU_DEP_1)
	v_mul_f32_e32 v5, 0x3d372713, v4
	v_bfe_u32 v6, v5, 16, 1
	v_cmp_o_f32_e32 vcc_lo, v5, v5
	s_delay_alu instid0(VALU_DEP_2) | instskip(NEXT) | instid1(VALU_DEP_1)
	v_add3_u32 v6, v5, v6, 0x7fff
	v_and_b32_e32 v6, 0xffff0000, v6
	s_wait_alu 0xfffd
	s_delay_alu instid0(VALU_DEP_1) | instskip(SKIP_1) | instid1(VALU_DEP_2)
	v_cndmask_b32_e32 v5, 0x7fc00000, v6, vcc_lo
	v_mul_f32_e32 v7, 0x3f4c422a, v4
	v_mul_f32_e32 v5, v5, v4
	s_delay_alu instid0(VALU_DEP_1) | instskip(SKIP_1) | instid1(VALU_DEP_2)
	v_bfe_u32 v6, v5, 16, 1
	v_cmp_o_f32_e32 vcc_lo, v5, v5
	v_add3_u32 v6, v5, v6, 0x7fff
	s_delay_alu instid0(VALU_DEP_1) | instskip(NEXT) | instid1(VALU_DEP_1)
	v_and_b32_e32 v6, 0xffff0000, v6
	v_add_f32_e32 v6, 1.0, v6
	s_wait_alu 0xfffd
	s_delay_alu instid0(VALU_DEP_1) | instskip(SKIP_2) | instid1(VALU_DEP_3)
	v_cndmask_b32_e32 v5, 0x7fc00000, v6, vcc_lo
	v_bfe_u32 v6, v7, 16, 1
	v_cmp_o_f32_e32 vcc_lo, v7, v7
	v_bfe_u32 v8, v5, 16, 1
	s_delay_alu instid0(VALU_DEP_3) | instskip(NEXT) | instid1(VALU_DEP_2)
	v_add3_u32 v6, v7, v6, 0x7fff
	v_add3_u32 v8, v5, v8, 0x7fff
	s_delay_alu instid0(VALU_DEP_2) | instskip(SKIP_1) | instid1(VALU_DEP_1)
	v_and_b32_e32 v6, 0xffff0000, v6
	s_wait_alu 0xfffd
	v_cndmask_b32_e32 v6, 0x7fc00000, v6, vcc_lo
	s_delay_alu instid0(VALU_DEP_3) | instskip(SKIP_2) | instid1(VALU_DEP_2)
	v_and_b32_e32 v8, 0xffff0000, v8
	v_cmp_o_f32_e32 vcc_lo, v5, v5
	s_wait_alu 0xfffd
	v_cndmask_b32_e32 v5, 0x7fc00000, v8, vcc_lo
	s_delay_alu instid0(VALU_DEP_1) | instskip(NEXT) | instid1(VALU_DEP_1)
	v_mul_f32_e32 v5, v6, v5
	v_bfe_u32 v6, v5, 16, 1
	v_cmp_o_f32_e32 vcc_lo, v5, v5
	s_delay_alu instid0(VALU_DEP_2) | instskip(NEXT) | instid1(VALU_DEP_1)
	v_add3_u32 v6, v5, v6, 0x7fff
	v_and_b32_e32 v6, 0xffff0000, v6
	s_wait_alu 0xfffd
	s_delay_alu instid0(VALU_DEP_1) | instskip(NEXT) | instid1(VALU_DEP_1)
	v_cndmask_b32_e32 v5, 0x7fc00000, v6, vcc_lo
                                        ; implicit-def: $vgpr6
	v_cmp_ngt_f32_e64 s0, 0x3f200000, |v5|
	s_and_saveexec_b32 s11, s0
	s_wait_alu 0xfffe
	s_xor_b32 s0, exec_lo, s11
	s_cbranch_execz .LBB23_5
; %bb.4:                                ;   in Loop: Header=BB23_3 Depth=1
	v_add_f32_e64 v6, |v5|, |v5|
	s_delay_alu instid0(VALU_DEP_1) | instskip(SKIP_1) | instid1(VALU_DEP_2)
	v_mul_f32_e32 v7, 0x3fb8aa3b, v6
	v_cmp_ngt_f32_e32 vcc_lo, 0xc2ce8ed0, v6
	v_rndne_f32_e32 v8, v7
	v_fma_f32 v9, 0x3fb8aa3b, v6, -v7
	s_delay_alu instid0(VALU_DEP_2) | instskip(NEXT) | instid1(VALU_DEP_2)
	v_sub_f32_e32 v7, v7, v8
	v_fmac_f32_e32 v9, 0x32a5705f, v6
	v_cvt_i32_f32_e32 v8, v8
	s_delay_alu instid0(VALU_DEP_2) | instskip(NEXT) | instid1(VALU_DEP_1)
	v_add_f32_e32 v7, v7, v9
	v_exp_f32_e32 v7, v7
	s_delay_alu instid0(TRANS32_DEP_1) | instskip(SKIP_1) | instid1(VALU_DEP_1)
	v_ldexp_f32 v7, v7, v8
	s_wait_alu 0xfffd
	v_cndmask_b32_e32 v7, 0, v7, vcc_lo
	v_cmp_nlt_f32_e32 vcc_lo, 0x42b17218, v6
	s_wait_alu 0xfffd
	s_delay_alu instid0(VALU_DEP_2) | instskip(NEXT) | instid1(VALU_DEP_1)
	v_cndmask_b32_e32 v6, 0x7f800000, v7, vcc_lo
	v_add_f32_e32 v6, 1.0, v6
	s_delay_alu instid0(VALU_DEP_1) | instskip(NEXT) | instid1(TRANS32_DEP_1)
	v_rcp_f32_e32 v6, v6
	v_fma_f32 v6, v6, -2.0, 1.0
.LBB23_5:                               ;   in Loop: Header=BB23_3 Depth=1
	s_wait_alu 0xfffe
	s_and_not1_saveexec_b32 s0, s0
	s_cbranch_execz .LBB23_2
; %bb.6:                                ;   in Loop: Header=BB23_3 Depth=1
	v_mul_f32_e32 v6, v5, v5
	s_delay_alu instid0(VALU_DEP_1) | instskip(NEXT) | instid1(VALU_DEP_1)
	v_fmaak_f32 v7, s10, v6, 0x3ca908c9
	v_fmaak_f32 v7, v6, v7, 0xbd5c1c4e
	s_delay_alu instid0(VALU_DEP_1) | instskip(NEXT) | instid1(VALU_DEP_1)
	v_fmaak_f32 v7, v6, v7, 0x3e088382
	v_fmaak_f32 v7, v6, v7, 0xbeaaaa99
	s_delay_alu instid0(VALU_DEP_1) | instskip(NEXT) | instid1(VALU_DEP_1)
	v_mul_f32_e64 v7, |v5|, v7
	v_fma_f32 v6, v6, v7, |v5|
	s_branch .LBB23_2
.LBB23_7:
	s_endpgm
	.section	.rodata,"a",@progbits
	.p2align	6, 0x0
	.amdhsa_kernel _ZN4vllm17activation_kernelIN3c108BFloat16ETnPFT_RKS3_EXadL_ZNS_16gelu_fast_kernelIS2_EES3_S5_EEEEvPS3_PS4_i
		.amdhsa_group_segment_fixed_size 0
		.amdhsa_private_segment_fixed_size 0
		.amdhsa_kernarg_size 280
		.amdhsa_user_sgpr_count 2
		.amdhsa_user_sgpr_dispatch_ptr 0
		.amdhsa_user_sgpr_queue_ptr 0
		.amdhsa_user_sgpr_kernarg_segment_ptr 1
		.amdhsa_user_sgpr_dispatch_id 0
		.amdhsa_user_sgpr_private_segment_size 0
		.amdhsa_wavefront_size32 1
		.amdhsa_uses_dynamic_stack 0
		.amdhsa_enable_private_segment 0
		.amdhsa_system_sgpr_workgroup_id_x 1
		.amdhsa_system_sgpr_workgroup_id_y 0
		.amdhsa_system_sgpr_workgroup_id_z 0
		.amdhsa_system_sgpr_workgroup_info 0
		.amdhsa_system_vgpr_workitem_id 0
		.amdhsa_next_free_vgpr 10
		.amdhsa_next_free_sgpr 12
		.amdhsa_reserve_vcc 1
		.amdhsa_float_round_mode_32 0
		.amdhsa_float_round_mode_16_64 0
		.amdhsa_float_denorm_mode_32 3
		.amdhsa_float_denorm_mode_16_64 3
		.amdhsa_fp16_overflow 0
		.amdhsa_workgroup_processor_mode 1
		.amdhsa_memory_ordered 1
		.amdhsa_forward_progress 1
		.amdhsa_inst_pref_size 9
		.amdhsa_round_robin_scheduling 0
		.amdhsa_exception_fp_ieee_invalid_op 0
		.amdhsa_exception_fp_denorm_src 0
		.amdhsa_exception_fp_ieee_div_zero 0
		.amdhsa_exception_fp_ieee_overflow 0
		.amdhsa_exception_fp_ieee_underflow 0
		.amdhsa_exception_fp_ieee_inexact 0
		.amdhsa_exception_int_div_zero 0
	.end_amdhsa_kernel
	.section	.text._ZN4vllm17activation_kernelIN3c108BFloat16ETnPFT_RKS3_EXadL_ZNS_16gelu_fast_kernelIS2_EES3_S5_EEEEvPS3_PS4_i,"axG",@progbits,_ZN4vllm17activation_kernelIN3c108BFloat16ETnPFT_RKS3_EXadL_ZNS_16gelu_fast_kernelIS2_EES3_S5_EEEEvPS3_PS4_i,comdat
.Lfunc_end23:
	.size	_ZN4vllm17activation_kernelIN3c108BFloat16ETnPFT_RKS3_EXadL_ZNS_16gelu_fast_kernelIS2_EES3_S5_EEEEvPS3_PS4_i, .Lfunc_end23-_ZN4vllm17activation_kernelIN3c108BFloat16ETnPFT_RKS3_EXadL_ZNS_16gelu_fast_kernelIS2_EES3_S5_EEEEvPS3_PS4_i
                                        ; -- End function
	.set _ZN4vllm17activation_kernelIN3c108BFloat16ETnPFT_RKS3_EXadL_ZNS_16gelu_fast_kernelIS2_EES3_S5_EEEEvPS3_PS4_i.num_vgpr, 10
	.set _ZN4vllm17activation_kernelIN3c108BFloat16ETnPFT_RKS3_EXadL_ZNS_16gelu_fast_kernelIS2_EES3_S5_EEEEvPS3_PS4_i.num_agpr, 0
	.set _ZN4vllm17activation_kernelIN3c108BFloat16ETnPFT_RKS3_EXadL_ZNS_16gelu_fast_kernelIS2_EES3_S5_EEEEvPS3_PS4_i.numbered_sgpr, 12
	.set _ZN4vllm17activation_kernelIN3c108BFloat16ETnPFT_RKS3_EXadL_ZNS_16gelu_fast_kernelIS2_EES3_S5_EEEEvPS3_PS4_i.num_named_barrier, 0
	.set _ZN4vllm17activation_kernelIN3c108BFloat16ETnPFT_RKS3_EXadL_ZNS_16gelu_fast_kernelIS2_EES3_S5_EEEEvPS3_PS4_i.private_seg_size, 0
	.set _ZN4vllm17activation_kernelIN3c108BFloat16ETnPFT_RKS3_EXadL_ZNS_16gelu_fast_kernelIS2_EES3_S5_EEEEvPS3_PS4_i.uses_vcc, 1
	.set _ZN4vllm17activation_kernelIN3c108BFloat16ETnPFT_RKS3_EXadL_ZNS_16gelu_fast_kernelIS2_EES3_S5_EEEEvPS3_PS4_i.uses_flat_scratch, 0
	.set _ZN4vllm17activation_kernelIN3c108BFloat16ETnPFT_RKS3_EXadL_ZNS_16gelu_fast_kernelIS2_EES3_S5_EEEEvPS3_PS4_i.has_dyn_sized_stack, 0
	.set _ZN4vllm17activation_kernelIN3c108BFloat16ETnPFT_RKS3_EXadL_ZNS_16gelu_fast_kernelIS2_EES3_S5_EEEEvPS3_PS4_i.has_recursion, 0
	.set _ZN4vllm17activation_kernelIN3c108BFloat16ETnPFT_RKS3_EXadL_ZNS_16gelu_fast_kernelIS2_EES3_S5_EEEEvPS3_PS4_i.has_indirect_call, 0
	.section	.AMDGPU.csdata,"",@progbits
; Kernel info:
; codeLenInByte = 1052
; TotalNumSgprs: 14
; NumVgprs: 10
; ScratchSize: 0
; MemoryBound: 0
; FloatMode: 240
; IeeeMode: 1
; LDSByteSize: 0 bytes/workgroup (compile time only)
; SGPRBlocks: 0
; VGPRBlocks: 1
; NumSGPRsForWavesPerEU: 14
; NumVGPRsForWavesPerEU: 10
; Occupancy: 16
; WaveLimiterHint : 0
; COMPUTE_PGM_RSRC2:SCRATCH_EN: 0
; COMPUTE_PGM_RSRC2:USER_SGPR: 2
; COMPUTE_PGM_RSRC2:TRAP_HANDLER: 0
; COMPUTE_PGM_RSRC2:TGID_X_EN: 1
; COMPUTE_PGM_RSRC2:TGID_Y_EN: 0
; COMPUTE_PGM_RSRC2:TGID_Z_EN: 0
; COMPUTE_PGM_RSRC2:TIDIG_COMP_CNT: 0
	.section	.text._ZN4vllm17activation_kernelIfTnPFT_RKS1_EXadL_ZNS_17gelu_quick_kernelIfEES1_S3_EEEEvPS1_PS2_i,"axG",@progbits,_ZN4vllm17activation_kernelIfTnPFT_RKS1_EXadL_ZNS_17gelu_quick_kernelIfEES1_S3_EEEEvPS1_PS2_i,comdat
	.protected	_ZN4vllm17activation_kernelIfTnPFT_RKS1_EXadL_ZNS_17gelu_quick_kernelIfEES1_S3_EEEEvPS1_PS2_i ; -- Begin function _ZN4vllm17activation_kernelIfTnPFT_RKS1_EXadL_ZNS_17gelu_quick_kernelIfEES1_S3_EEEEvPS1_PS2_i
	.globl	_ZN4vllm17activation_kernelIfTnPFT_RKS1_EXadL_ZNS_17gelu_quick_kernelIfEES1_S3_EEEEvPS1_PS2_i
	.p2align	8
	.type	_ZN4vllm17activation_kernelIfTnPFT_RKS1_EXadL_ZNS_17gelu_quick_kernelIfEES1_S3_EEEEvPS1_PS2_i,@function
_ZN4vllm17activation_kernelIfTnPFT_RKS1_EXadL_ZNS_17gelu_quick_kernelIfEES1_S3_EEEEvPS1_PS2_i: ; @_ZN4vllm17activation_kernelIfTnPFT_RKS1_EXadL_ZNS_17gelu_quick_kernelIfEES1_S3_EEEEvPS1_PS2_i
; %bb.0:
	s_load_b32 s2, s[0:1], 0x10
	s_mov_b32 s3, exec_lo
	s_wait_kmcnt 0x0
	v_cmpx_gt_i32_e64 s2, v0
	s_cbranch_execz .LBB24_3
; %bb.1:
	v_mov_b32_e32 v1, 0
	s_clause 0x1
	s_load_b32 s8, s[0:1], 0x24
	s_load_b128 s[4:7], s[0:1], 0x0
	s_ashr_i32 s3, s2, 31
	v_mad_co_u64_u32 v[2:3], null, s2, ttmp9, v[0:1]
	s_wait_alu 0xfffe
	s_delay_alu instid0(VALU_DEP_1) | instskip(SKIP_2) | instid1(VALU_DEP_1)
	v_mad_co_u64_u32 v[3:4], null, s3, ttmp9, v[3:4]
	s_wait_kmcnt 0x0
	s_and_b32 s1, s8, 0xffff
	v_lshlrev_b64_e32 v[2:3], 2, v[2:3]
	s_mov_b32 s8, 0
	s_wait_alu 0xfffe
	s_lshl_b32 s9, s1, 2
.LBB24_2:                               ; =>This Inner Loop Header: Depth=1
	s_delay_alu instid0(VALU_DEP_1)
	v_add_co_u32 v4, vcc_lo, s6, v2
	s_wait_alu 0xfffd
	v_add_co_ci_u32_e64 v5, null, s7, v3, vcc_lo
	global_load_b32 v6, v[4:5], off
	s_wait_loadcnt 0x0
	v_mul_f32_e32 v4, 0xbfd9db23, v6
	s_delay_alu instid0(VALU_DEP_1) | instskip(NEXT) | instid1(VALU_DEP_1)
	v_mul_f32_e32 v5, 0x3fb8aa3b, v4
	v_fma_f32 v7, 0x3fb8aa3b, v4, -v5
	v_rndne_f32_e32 v8, v5
	s_delay_alu instid0(VALU_DEP_1) | instskip(NEXT) | instid1(VALU_DEP_3)
	v_sub_f32_e32 v5, v5, v8
	v_fmac_f32_e32 v7, 0x32a5705f, v4
	v_cmp_ngt_f32_e32 vcc_lo, 0xc2ce8ed0, v4
	s_delay_alu instid0(VALU_DEP_2) | instskip(SKIP_1) | instid1(VALU_DEP_2)
	v_add_f32_e32 v5, v5, v7
	v_cvt_i32_f32_e32 v7, v8
	v_exp_f32_e32 v5, v5
	s_delay_alu instid0(TRANS32_DEP_1) | instskip(SKIP_1) | instid1(VALU_DEP_1)
	v_ldexp_f32 v5, v5, v7
	s_wait_alu 0xfffd
	v_cndmask_b32_e32 v5, 0, v5, vcc_lo
	v_cmp_nlt_f32_e32 vcc_lo, 0x42b17218, v4
	s_wait_alu 0xfffd
	s_delay_alu instid0(VALU_DEP_2) | instskip(NEXT) | instid1(VALU_DEP_1)
	v_cndmask_b32_e32 v4, 0x7f800000, v5, vcc_lo
	v_add_f32_e32 v7, 1.0, v4
	s_delay_alu instid0(VALU_DEP_1) | instskip(SKIP_1) | instid1(VALU_DEP_2)
	v_div_scale_f32 v8, null, v7, v7, v6
	v_div_scale_f32 v10, vcc_lo, v6, v7, v6
	v_rcp_f32_e32 v9, v8
	s_delay_alu instid0(TRANS32_DEP_1) | instskip(NEXT) | instid1(VALU_DEP_1)
	v_fma_f32 v4, -v8, v9, 1.0
	v_fmac_f32_e32 v9, v4, v9
	v_add_co_u32 v4, s0, s4, v2
	s_delay_alu instid0(VALU_DEP_2) | instskip(NEXT) | instid1(VALU_DEP_1)
	v_mul_f32_e32 v11, v10, v9
	v_fma_f32 v5, -v8, v11, v10
	s_delay_alu instid0(VALU_DEP_1) | instskip(SKIP_3) | instid1(VALU_DEP_3)
	v_fmac_f32_e32 v11, v5, v9
	s_wait_alu 0xf1ff
	v_add_co_ci_u32_e64 v5, null, s5, v3, s0
	v_add_co_u32 v0, s0, v0, s1
	v_fma_f32 v8, -v8, v11, v10
	s_wait_alu 0xf1ff
	v_add_co_ci_u32_e64 v1, null, 0, v1, s0
	v_add_co_u32 v2, s0, v2, s9
	s_wait_alu 0xfffd
	v_div_fmas_f32 v8, v8, v9, v11
	s_delay_alu instid0(VALU_DEP_3) | instskip(SKIP_2) | instid1(VALU_DEP_3)
	v_cmp_le_i64_e32 vcc_lo, s[2:3], v[0:1]
	s_wait_alu 0xf1ff
	v_add_co_ci_u32_e64 v3, null, 0, v3, s0
	v_div_fixup_f32 v6, v8, v7, v6
	s_or_b32 s8, vcc_lo, s8
	global_store_b32 v[4:5], v6, off
	s_wait_alu 0xfffe
	s_and_not1_b32 exec_lo, exec_lo, s8
	s_cbranch_execnz .LBB24_2
.LBB24_3:
	s_endpgm
	.section	.rodata,"a",@progbits
	.p2align	6, 0x0
	.amdhsa_kernel _ZN4vllm17activation_kernelIfTnPFT_RKS1_EXadL_ZNS_17gelu_quick_kernelIfEES1_S3_EEEEvPS1_PS2_i
		.amdhsa_group_segment_fixed_size 0
		.amdhsa_private_segment_fixed_size 0
		.amdhsa_kernarg_size 280
		.amdhsa_user_sgpr_count 2
		.amdhsa_user_sgpr_dispatch_ptr 0
		.amdhsa_user_sgpr_queue_ptr 0
		.amdhsa_user_sgpr_kernarg_segment_ptr 1
		.amdhsa_user_sgpr_dispatch_id 0
		.amdhsa_user_sgpr_private_segment_size 0
		.amdhsa_wavefront_size32 1
		.amdhsa_uses_dynamic_stack 0
		.amdhsa_enable_private_segment 0
		.amdhsa_system_sgpr_workgroup_id_x 1
		.amdhsa_system_sgpr_workgroup_id_y 0
		.amdhsa_system_sgpr_workgroup_id_z 0
		.amdhsa_system_sgpr_workgroup_info 0
		.amdhsa_system_vgpr_workitem_id 0
		.amdhsa_next_free_vgpr 12
		.amdhsa_next_free_sgpr 10
		.amdhsa_reserve_vcc 1
		.amdhsa_float_round_mode_32 0
		.amdhsa_float_round_mode_16_64 0
		.amdhsa_float_denorm_mode_32 3
		.amdhsa_float_denorm_mode_16_64 3
		.amdhsa_fp16_overflow 0
		.amdhsa_workgroup_processor_mode 1
		.amdhsa_memory_ordered 1
		.amdhsa_forward_progress 1
		.amdhsa_inst_pref_size 4
		.amdhsa_round_robin_scheduling 0
		.amdhsa_exception_fp_ieee_invalid_op 0
		.amdhsa_exception_fp_denorm_src 0
		.amdhsa_exception_fp_ieee_div_zero 0
		.amdhsa_exception_fp_ieee_overflow 0
		.amdhsa_exception_fp_ieee_underflow 0
		.amdhsa_exception_fp_ieee_inexact 0
		.amdhsa_exception_int_div_zero 0
	.end_amdhsa_kernel
	.section	.text._ZN4vllm17activation_kernelIfTnPFT_RKS1_EXadL_ZNS_17gelu_quick_kernelIfEES1_S3_EEEEvPS1_PS2_i,"axG",@progbits,_ZN4vllm17activation_kernelIfTnPFT_RKS1_EXadL_ZNS_17gelu_quick_kernelIfEES1_S3_EEEEvPS1_PS2_i,comdat
.Lfunc_end24:
	.size	_ZN4vllm17activation_kernelIfTnPFT_RKS1_EXadL_ZNS_17gelu_quick_kernelIfEES1_S3_EEEEvPS1_PS2_i, .Lfunc_end24-_ZN4vllm17activation_kernelIfTnPFT_RKS1_EXadL_ZNS_17gelu_quick_kernelIfEES1_S3_EEEEvPS1_PS2_i
                                        ; -- End function
	.set _ZN4vllm17activation_kernelIfTnPFT_RKS1_EXadL_ZNS_17gelu_quick_kernelIfEES1_S3_EEEEvPS1_PS2_i.num_vgpr, 12
	.set _ZN4vllm17activation_kernelIfTnPFT_RKS1_EXadL_ZNS_17gelu_quick_kernelIfEES1_S3_EEEEvPS1_PS2_i.num_agpr, 0
	.set _ZN4vllm17activation_kernelIfTnPFT_RKS1_EXadL_ZNS_17gelu_quick_kernelIfEES1_S3_EEEEvPS1_PS2_i.numbered_sgpr, 10
	.set _ZN4vllm17activation_kernelIfTnPFT_RKS1_EXadL_ZNS_17gelu_quick_kernelIfEES1_S3_EEEEvPS1_PS2_i.num_named_barrier, 0
	.set _ZN4vllm17activation_kernelIfTnPFT_RKS1_EXadL_ZNS_17gelu_quick_kernelIfEES1_S3_EEEEvPS1_PS2_i.private_seg_size, 0
	.set _ZN4vllm17activation_kernelIfTnPFT_RKS1_EXadL_ZNS_17gelu_quick_kernelIfEES1_S3_EEEEvPS1_PS2_i.uses_vcc, 1
	.set _ZN4vllm17activation_kernelIfTnPFT_RKS1_EXadL_ZNS_17gelu_quick_kernelIfEES1_S3_EEEEvPS1_PS2_i.uses_flat_scratch, 0
	.set _ZN4vllm17activation_kernelIfTnPFT_RKS1_EXadL_ZNS_17gelu_quick_kernelIfEES1_S3_EEEEvPS1_PS2_i.has_dyn_sized_stack, 0
	.set _ZN4vllm17activation_kernelIfTnPFT_RKS1_EXadL_ZNS_17gelu_quick_kernelIfEES1_S3_EEEEvPS1_PS2_i.has_recursion, 0
	.set _ZN4vllm17activation_kernelIfTnPFT_RKS1_EXadL_ZNS_17gelu_quick_kernelIfEES1_S3_EEEEvPS1_PS2_i.has_indirect_call, 0
	.section	.AMDGPU.csdata,"",@progbits
; Kernel info:
; codeLenInByte = 464
; TotalNumSgprs: 12
; NumVgprs: 12
; ScratchSize: 0
; MemoryBound: 0
; FloatMode: 240
; IeeeMode: 1
; LDSByteSize: 0 bytes/workgroup (compile time only)
; SGPRBlocks: 0
; VGPRBlocks: 1
; NumSGPRsForWavesPerEU: 12
; NumVGPRsForWavesPerEU: 12
; Occupancy: 16
; WaveLimiterHint : 0
; COMPUTE_PGM_RSRC2:SCRATCH_EN: 0
; COMPUTE_PGM_RSRC2:USER_SGPR: 2
; COMPUTE_PGM_RSRC2:TRAP_HANDLER: 0
; COMPUTE_PGM_RSRC2:TGID_X_EN: 1
; COMPUTE_PGM_RSRC2:TGID_Y_EN: 0
; COMPUTE_PGM_RSRC2:TGID_Z_EN: 0
; COMPUTE_PGM_RSRC2:TIDIG_COMP_CNT: 0
	.section	.text._ZN4vllm17activation_kernelIN3c104HalfETnPFT_RKS3_EXadL_ZNS_17gelu_quick_kernelIS2_EES3_S5_EEEEvPS3_PS4_i,"axG",@progbits,_ZN4vllm17activation_kernelIN3c104HalfETnPFT_RKS3_EXadL_ZNS_17gelu_quick_kernelIS2_EES3_S5_EEEEvPS3_PS4_i,comdat
	.protected	_ZN4vllm17activation_kernelIN3c104HalfETnPFT_RKS3_EXadL_ZNS_17gelu_quick_kernelIS2_EES3_S5_EEEEvPS3_PS4_i ; -- Begin function _ZN4vllm17activation_kernelIN3c104HalfETnPFT_RKS3_EXadL_ZNS_17gelu_quick_kernelIS2_EES3_S5_EEEEvPS3_PS4_i
	.globl	_ZN4vllm17activation_kernelIN3c104HalfETnPFT_RKS3_EXadL_ZNS_17gelu_quick_kernelIS2_EES3_S5_EEEEvPS3_PS4_i
	.p2align	8
	.type	_ZN4vllm17activation_kernelIN3c104HalfETnPFT_RKS3_EXadL_ZNS_17gelu_quick_kernelIS2_EES3_S5_EEEEvPS3_PS4_i,@function
_ZN4vllm17activation_kernelIN3c104HalfETnPFT_RKS3_EXadL_ZNS_17gelu_quick_kernelIS2_EES3_S5_EEEEvPS3_PS4_i: ; @_ZN4vllm17activation_kernelIN3c104HalfETnPFT_RKS3_EXadL_ZNS_17gelu_quick_kernelIS2_EES3_S5_EEEEvPS3_PS4_i
; %bb.0:
	s_load_b32 s2, s[0:1], 0x10
	s_mov_b32 s3, exec_lo
	s_wait_kmcnt 0x0
	v_cmpx_gt_i32_e64 s2, v0
	s_cbranch_execz .LBB25_8
; %bb.1:
	v_dual_mov_b32 v1, 0 :: v_dual_add_nc_u32 v2, 1, v0
	s_clause 0x1
	s_load_b32 s9, s[0:1], 0x24
	s_load_b128 s[4:7], s[0:1], 0x0
	s_ashr_i32 s3, s2, 31
	v_mov_b32_e32 v3, v1
	s_mov_b32 s8, ttmp9
	s_wait_alu 0xfffe
	s_delay_alu instid0(VALU_DEP_1) | instskip(SKIP_2) | instid1(VALU_DEP_2)
	v_cmp_lt_i64_e32 vcc_lo, s[2:3], v[2:3]
	v_cndmask_b32_e32 v2, s2, v2, vcc_lo
	v_cndmask_b32_e64 v3, s3, 0, vcc_lo
	v_sub_co_u32 v2, vcc_lo, v2, v0
	s_wait_alu 0xfffd
	s_delay_alu instid0(VALU_DEP_2)
	v_subrev_co_ci_u32_e64 v3, null, 0, v3, vcc_lo
	s_wait_kmcnt 0x0
	s_and_b32 s12, s9, 0xffff
	s_mov_b32 s9, 0
	s_cmp_eq_u32 s12, 1
	v_cmp_lt_u64_e32 vcc_lo, 1, v[2:3]
	s_cselect_b32 s0, -1, 0
	s_mul_u64 s[10:11], s[2:3], s[8:9]
	s_and_b32 s1, vcc_lo, s0
	s_mov_b32 s0, -1
	s_and_saveexec_b32 s8, s1
	s_cbranch_execz .LBB25_5
; %bb.2:
	v_add_co_u32 v4, s0, v0, s10
	s_delay_alu instid0(VALU_DEP_1) | instskip(NEXT) | instid1(VALU_DEP_1)
	v_add_co_ci_u32_e64 v5, null, 0, s11, s0
	v_lshlrev_b64_e32 v[8:9], 1, v[4:5]
	v_dual_mov_b32 v5, v3 :: v_dual_and_b32 v4, -2, v2
	s_delay_alu instid0(VALU_DEP_2) | instskip(SKIP_1) | instid1(VALU_DEP_3)
	v_add_co_u32 v6, vcc_lo, s6, v8
	s_wait_alu 0xfffd
	v_add_co_ci_u32_e64 v7, null, s7, v9, vcc_lo
	v_add_co_u32 v8, vcc_lo, s4, v8
	s_wait_alu 0xfffd
	v_add_co_ci_u32_e64 v9, null, s5, v9, vcc_lo
	v_dual_mov_b32 v11, v5 :: v_dual_mov_b32 v10, v4
.LBB25_3:                               ; =>This Inner Loop Header: Depth=1
	global_load_b32 v1, v[6:7], off
	v_add_co_u32 v10, vcc_lo, v10, -2
	s_wait_alu 0xfffd
	v_add_co_ci_u32_e64 v11, null, -1, v11, vcc_lo
	v_add_co_u32 v6, vcc_lo, v6, 4
	s_wait_alu 0xfffd
	v_add_co_ci_u32_e64 v7, null, 0, v7, vcc_lo
	s_delay_alu instid0(VALU_DEP_3) | instskip(SKIP_4) | instid1(VALU_DEP_2)
	v_cmp_eq_u64_e64 s0, 0, v[10:11]
	s_or_b32 s9, s0, s9
	s_wait_loadcnt 0x0
	v_lshrrev_b32_e32 v12, 16, v1
	v_cvt_f32_f16_e32 v1, v1
	v_cvt_f32_f16_e32 v12, v12
	s_delay_alu instid0(VALU_DEP_1) | instskip(NEXT) | instid1(VALU_DEP_1)
	v_dual_mul_f32 v13, 0xbfd9db23, v1 :: v_dual_mul_f32 v14, 0xbfd9db23, v12
	v_mul_f32_e32 v15, 0x3fb8aa3b, v13
	v_cmp_ngt_f32_e32 vcc_lo, 0xc2ce8ed0, v13
	s_delay_alu instid0(VALU_DEP_3) | instskip(NEXT) | instid1(VALU_DEP_3)
	v_mul_f32_e32 v16, 0x3fb8aa3b, v14
	v_fma_f32 v17, 0x3fb8aa3b, v13, -v15
	v_rndne_f32_e32 v18, v15
	v_cmp_ngt_f32_e64 s1, 0xc2ce8ed0, v14
	s_delay_alu instid0(VALU_DEP_4) | instskip(SKIP_2) | instid1(VALU_DEP_2)
	v_fma_f32 v19, 0x3fb8aa3b, v14, -v16
	v_rndne_f32_e32 v20, v16
	v_fmac_f32_e32 v17, 0x32a5705f, v13
	v_dual_fmac_f32 v19, 0x32a5705f, v14 :: v_dual_sub_f32 v16, v16, v20
	v_sub_f32_e32 v15, v15, v18
	v_cvt_i32_f32_e32 v18, v18
	s_delay_alu instid0(VALU_DEP_2) | instskip(SKIP_1) | instid1(VALU_DEP_2)
	v_dual_add_f32 v16, v16, v19 :: v_dual_add_f32 v15, v15, v17
	v_cvt_i32_f32_e32 v17, v20
	v_exp_f32_e32 v16, v16
	s_delay_alu instid0(VALU_DEP_2) | instskip(NEXT) | instid1(TRANS32_DEP_2)
	v_exp_f32_e32 v15, v15
	v_ldexp_f32 v16, v16, v17
	s_delay_alu instid0(TRANS32_DEP_1) | instskip(SKIP_1) | instid1(VALU_DEP_1)
	v_ldexp_f32 v15, v15, v18
	s_wait_alu 0xfffd
	v_cndmask_b32_e32 v15, 0, v15, vcc_lo
	v_cmp_nlt_f32_e32 vcc_lo, 0x42b17218, v13
	s_wait_alu 0xf1ff
	v_cndmask_b32_e64 v13, 0, v16, s1
	s_wait_alu 0xfffd
	v_cndmask_b32_e32 v15, 0x7f800000, v15, vcc_lo
	v_cmp_nlt_f32_e32 vcc_lo, 0x42b17218, v14
	s_wait_alu 0xfffd
	v_cndmask_b32_e32 v13, 0x7f800000, v13, vcc_lo
	s_delay_alu instid0(VALU_DEP_1) | instskip(NEXT) | instid1(VALU_DEP_1)
	v_add_f32_e32 v13, 1.0, v13
	v_div_scale_f32 v17, null, v13, v13, v12
	v_div_scale_f32 v20, vcc_lo, v12, v13, v12
	s_delay_alu instid0(VALU_DEP_2) | instskip(NEXT) | instid1(TRANS32_DEP_1)
	v_rcp_f32_e32 v18, v17
	v_fma_f32 v22, -v17, v18, 1.0
	s_delay_alu instid0(VALU_DEP_1) | instskip(NEXT) | instid1(VALU_DEP_1)
	v_fmac_f32_e32 v18, v22, v18
	v_mul_f32_e32 v22, v20, v18
	s_delay_alu instid0(VALU_DEP_1) | instskip(NEXT) | instid1(VALU_DEP_1)
	v_fma_f32 v24, -v17, v22, v20
	v_fmac_f32_e32 v22, v24, v18
	v_add_f32_e32 v14, 1.0, v15
	s_delay_alu instid0(VALU_DEP_1) | instskip(SKIP_1) | instid1(VALU_DEP_2)
	v_div_scale_f32 v15, null, v14, v14, v1
	v_div_scale_f32 v16, s1, v1, v14, v1
	v_rcp_f32_e32 v19, v15
	s_delay_alu instid0(TRANS32_DEP_1) | instskip(NEXT) | instid1(VALU_DEP_1)
	v_fma_f32 v21, -v15, v19, 1.0
	v_fmac_f32_e32 v19, v21, v19
	s_delay_alu instid0(VALU_DEP_1) | instskip(NEXT) | instid1(VALU_DEP_1)
	v_mul_f32_e32 v21, v16, v19
	v_fma_f32 v23, -v15, v21, v16
	s_delay_alu instid0(VALU_DEP_1) | instskip(NEXT) | instid1(VALU_DEP_1)
	v_fmac_f32_e32 v21, v23, v19
	v_fma_f32 v15, -v15, v21, v16
	v_fma_f32 v16, -v17, v22, v20
	s_wait_alu 0xfffd
	s_delay_alu instid0(VALU_DEP_1) | instskip(SKIP_3) | instid1(VALU_DEP_2)
	v_div_fmas_f32 v16, v16, v18, v22
	s_mov_b32 vcc_lo, s1
	s_wait_alu 0xfffe
	v_div_fmas_f32 v15, v15, v19, v21
	v_div_fixup_f32 v12, v16, v13, v12
	s_delay_alu instid0(VALU_DEP_2) | instskip(NEXT) | instid1(VALU_DEP_2)
	v_div_fixup_f32 v1, v15, v14, v1
	v_cvt_f16_f32_e32 v12, v12
	s_delay_alu instid0(VALU_DEP_2) | instskip(NEXT) | instid1(VALU_DEP_1)
	v_cvt_f16_f32_e32 v1, v1
	v_pack_b32_f16 v1, v1, v12
	global_store_b32 v[8:9], v1, off
	v_add_co_u32 v8, vcc_lo, v8, 4
	s_wait_alu 0xfffd
	v_add_co_ci_u32_e64 v9, null, 0, v9, vcc_lo
	s_and_not1_b32 exec_lo, exec_lo, s9
	s_cbranch_execnz .LBB25_3
; %bb.4:
	s_or_b32 exec_lo, exec_lo, s9
	v_cmp_ne_u64_e32 vcc_lo, v[2:3], v[4:5]
	v_add_co_u32 v0, s0, v4, v0
	s_wait_alu 0xf1ff
	v_add_co_ci_u32_e64 v1, null, 0, v5, s0
	s_or_not1_b32 s0, vcc_lo, exec_lo
.LBB25_5:
	s_or_b32 exec_lo, exec_lo, s8
	s_wait_alu 0xfffe
	s_and_b32 exec_lo, exec_lo, s0
	s_cbranch_execz .LBB25_8
; %bb.6:
	v_add_co_u32 v2, vcc_lo, v0, s10
	s_wait_alu 0xfffd
	v_add_co_ci_u32_e64 v3, null, s11, v1, vcc_lo
	s_mov_b32 s1, 0
	s_lshl_b32 s8, s12, 1
	v_lshlrev_b64_e32 v[2:3], 1, v[2:3]
.LBB25_7:                               ; =>This Inner Loop Header: Depth=1
	s_delay_alu instid0(VALU_DEP_1) | instskip(SKIP_1) | instid1(VALU_DEP_2)
	v_add_co_u32 v4, vcc_lo, s6, v2
	s_wait_alu 0xfffd
	v_add_co_ci_u32_e64 v5, null, s7, v3, vcc_lo
	v_add_co_u32 v0, s0, v0, s12
	s_wait_alu 0xf1ff
	v_add_co_ci_u32_e64 v1, null, 0, v1, s0
	global_load_u16 v4, v[4:5], off
	s_wait_loadcnt 0x0
	v_cvt_f32_f16_e32 v6, v4
	s_delay_alu instid0(VALU_DEP_1) | instskip(NEXT) | instid1(VALU_DEP_1)
	v_mul_f32_e32 v4, 0xbfd9db23, v6
	v_mul_f32_e32 v5, 0x3fb8aa3b, v4
	s_delay_alu instid0(VALU_DEP_1) | instskip(SKIP_1) | instid1(VALU_DEP_1)
	v_fma_f32 v7, 0x3fb8aa3b, v4, -v5
	v_rndne_f32_e32 v8, v5
	v_sub_f32_e32 v5, v5, v8
	s_delay_alu instid0(VALU_DEP_3) | instskip(SKIP_1) | instid1(VALU_DEP_2)
	v_fmac_f32_e32 v7, 0x32a5705f, v4
	v_cmp_ngt_f32_e32 vcc_lo, 0xc2ce8ed0, v4
	v_add_f32_e32 v5, v5, v7
	v_cvt_i32_f32_e32 v7, v8
	s_delay_alu instid0(VALU_DEP_2) | instskip(NEXT) | instid1(TRANS32_DEP_1)
	v_exp_f32_e32 v5, v5
	v_ldexp_f32 v5, v5, v7
	s_wait_alu 0xfffd
	s_delay_alu instid0(VALU_DEP_1) | instskip(SKIP_2) | instid1(VALU_DEP_2)
	v_cndmask_b32_e32 v5, 0, v5, vcc_lo
	v_cmp_nlt_f32_e32 vcc_lo, 0x42b17218, v4
	s_wait_alu 0xfffd
	v_cndmask_b32_e32 v4, 0x7f800000, v5, vcc_lo
	s_delay_alu instid0(VALU_DEP_1) | instskip(NEXT) | instid1(VALU_DEP_1)
	v_add_f32_e32 v7, 1.0, v4
	v_div_scale_f32 v4, null, v7, v7, v6
	v_div_scale_f32 v9, vcc_lo, v6, v7, v6
	s_delay_alu instid0(VALU_DEP_2) | instskip(NEXT) | instid1(TRANS32_DEP_1)
	v_rcp_f32_e32 v5, v4
	v_fma_f32 v8, -v4, v5, 1.0
	s_delay_alu instid0(VALU_DEP_1) | instskip(NEXT) | instid1(VALU_DEP_1)
	v_fmac_f32_e32 v5, v8, v5
	v_mul_f32_e32 v8, v9, v5
	s_delay_alu instid0(VALU_DEP_1) | instskip(NEXT) | instid1(VALU_DEP_1)
	v_fma_f32 v10, -v4, v8, v9
	v_fmac_f32_e32 v8, v10, v5
	s_delay_alu instid0(VALU_DEP_1) | instskip(SKIP_1) | instid1(VALU_DEP_1)
	v_fma_f32 v4, -v4, v8, v9
	s_wait_alu 0xfffd
	v_div_fmas_f32 v8, v4, v5, v8
	v_add_co_u32 v4, vcc_lo, s4, v2
	s_wait_alu 0xfffd
	v_add_co_ci_u32_e64 v5, null, s5, v3, vcc_lo
	s_delay_alu instid0(VALU_DEP_3)
	v_div_fixup_f32 v6, v8, v7, v6
	v_cmp_le_i64_e32 vcc_lo, s[2:3], v[0:1]
	v_add_co_u32 v2, s0, v2, s8
	s_wait_alu 0xf1ff
	v_add_co_ci_u32_e64 v3, null, 0, v3, s0
	v_cvt_f16_f32_e32 v6, v6
	s_wait_alu 0xfffe
	s_or_b32 s1, vcc_lo, s1
	global_store_b16 v[4:5], v6, off
	s_wait_alu 0xfffe
	s_and_not1_b32 exec_lo, exec_lo, s1
	s_cbranch_execnz .LBB25_7
.LBB25_8:
	s_endpgm
	.section	.rodata,"a",@progbits
	.p2align	6, 0x0
	.amdhsa_kernel _ZN4vllm17activation_kernelIN3c104HalfETnPFT_RKS3_EXadL_ZNS_17gelu_quick_kernelIS2_EES3_S5_EEEEvPS3_PS4_i
		.amdhsa_group_segment_fixed_size 0
		.amdhsa_private_segment_fixed_size 0
		.amdhsa_kernarg_size 280
		.amdhsa_user_sgpr_count 2
		.amdhsa_user_sgpr_dispatch_ptr 0
		.amdhsa_user_sgpr_queue_ptr 0
		.amdhsa_user_sgpr_kernarg_segment_ptr 1
		.amdhsa_user_sgpr_dispatch_id 0
		.amdhsa_user_sgpr_private_segment_size 0
		.amdhsa_wavefront_size32 1
		.amdhsa_uses_dynamic_stack 0
		.amdhsa_enable_private_segment 0
		.amdhsa_system_sgpr_workgroup_id_x 1
		.amdhsa_system_sgpr_workgroup_id_y 0
		.amdhsa_system_sgpr_workgroup_id_z 0
		.amdhsa_system_sgpr_workgroup_info 0
		.amdhsa_system_vgpr_workitem_id 0
		.amdhsa_next_free_vgpr 25
		.amdhsa_next_free_sgpr 13
		.amdhsa_reserve_vcc 1
		.amdhsa_float_round_mode_32 0
		.amdhsa_float_round_mode_16_64 0
		.amdhsa_float_denorm_mode_32 3
		.amdhsa_float_denorm_mode_16_64 3
		.amdhsa_fp16_overflow 0
		.amdhsa_workgroup_processor_mode 1
		.amdhsa_memory_ordered 1
		.amdhsa_forward_progress 1
		.amdhsa_inst_pref_size 10
		.amdhsa_round_robin_scheduling 0
		.amdhsa_exception_fp_ieee_invalid_op 0
		.amdhsa_exception_fp_denorm_src 0
		.amdhsa_exception_fp_ieee_div_zero 0
		.amdhsa_exception_fp_ieee_overflow 0
		.amdhsa_exception_fp_ieee_underflow 0
		.amdhsa_exception_fp_ieee_inexact 0
		.amdhsa_exception_int_div_zero 0
	.end_amdhsa_kernel
	.section	.text._ZN4vllm17activation_kernelIN3c104HalfETnPFT_RKS3_EXadL_ZNS_17gelu_quick_kernelIS2_EES3_S5_EEEEvPS3_PS4_i,"axG",@progbits,_ZN4vllm17activation_kernelIN3c104HalfETnPFT_RKS3_EXadL_ZNS_17gelu_quick_kernelIS2_EES3_S5_EEEEvPS3_PS4_i,comdat
.Lfunc_end25:
	.size	_ZN4vllm17activation_kernelIN3c104HalfETnPFT_RKS3_EXadL_ZNS_17gelu_quick_kernelIS2_EES3_S5_EEEEvPS3_PS4_i, .Lfunc_end25-_ZN4vllm17activation_kernelIN3c104HalfETnPFT_RKS3_EXadL_ZNS_17gelu_quick_kernelIS2_EES3_S5_EEEEvPS3_PS4_i
                                        ; -- End function
	.set _ZN4vllm17activation_kernelIN3c104HalfETnPFT_RKS3_EXadL_ZNS_17gelu_quick_kernelIS2_EES3_S5_EEEEvPS3_PS4_i.num_vgpr, 25
	.set _ZN4vllm17activation_kernelIN3c104HalfETnPFT_RKS3_EXadL_ZNS_17gelu_quick_kernelIS2_EES3_S5_EEEEvPS3_PS4_i.num_agpr, 0
	.set _ZN4vllm17activation_kernelIN3c104HalfETnPFT_RKS3_EXadL_ZNS_17gelu_quick_kernelIS2_EES3_S5_EEEEvPS3_PS4_i.numbered_sgpr, 13
	.set _ZN4vllm17activation_kernelIN3c104HalfETnPFT_RKS3_EXadL_ZNS_17gelu_quick_kernelIS2_EES3_S5_EEEEvPS3_PS4_i.num_named_barrier, 0
	.set _ZN4vllm17activation_kernelIN3c104HalfETnPFT_RKS3_EXadL_ZNS_17gelu_quick_kernelIS2_EES3_S5_EEEEvPS3_PS4_i.private_seg_size, 0
	.set _ZN4vllm17activation_kernelIN3c104HalfETnPFT_RKS3_EXadL_ZNS_17gelu_quick_kernelIS2_EES3_S5_EEEEvPS3_PS4_i.uses_vcc, 1
	.set _ZN4vllm17activation_kernelIN3c104HalfETnPFT_RKS3_EXadL_ZNS_17gelu_quick_kernelIS2_EES3_S5_EEEEvPS3_PS4_i.uses_flat_scratch, 0
	.set _ZN4vllm17activation_kernelIN3c104HalfETnPFT_RKS3_EXadL_ZNS_17gelu_quick_kernelIS2_EES3_S5_EEEEvPS3_PS4_i.has_dyn_sized_stack, 0
	.set _ZN4vllm17activation_kernelIN3c104HalfETnPFT_RKS3_EXadL_ZNS_17gelu_quick_kernelIS2_EES3_S5_EEEEvPS3_PS4_i.has_recursion, 0
	.set _ZN4vllm17activation_kernelIN3c104HalfETnPFT_RKS3_EXadL_ZNS_17gelu_quick_kernelIS2_EES3_S5_EEEEvPS3_PS4_i.has_indirect_call, 0
	.section	.AMDGPU.csdata,"",@progbits
; Kernel info:
; codeLenInByte = 1276
; TotalNumSgprs: 15
; NumVgprs: 25
; ScratchSize: 0
; MemoryBound: 0
; FloatMode: 240
; IeeeMode: 1
; LDSByteSize: 0 bytes/workgroup (compile time only)
; SGPRBlocks: 0
; VGPRBlocks: 3
; NumSGPRsForWavesPerEU: 15
; NumVGPRsForWavesPerEU: 25
; Occupancy: 16
; WaveLimiterHint : 0
; COMPUTE_PGM_RSRC2:SCRATCH_EN: 0
; COMPUTE_PGM_RSRC2:USER_SGPR: 2
; COMPUTE_PGM_RSRC2:TRAP_HANDLER: 0
; COMPUTE_PGM_RSRC2:TGID_X_EN: 1
; COMPUTE_PGM_RSRC2:TGID_Y_EN: 0
; COMPUTE_PGM_RSRC2:TGID_Z_EN: 0
; COMPUTE_PGM_RSRC2:TIDIG_COMP_CNT: 0
	.section	.text._ZN4vllm17activation_kernelIN3c108BFloat16ETnPFT_RKS3_EXadL_ZNS_17gelu_quick_kernelIS2_EES3_S5_EEEEvPS3_PS4_i,"axG",@progbits,_ZN4vllm17activation_kernelIN3c108BFloat16ETnPFT_RKS3_EXadL_ZNS_17gelu_quick_kernelIS2_EES3_S5_EEEEvPS3_PS4_i,comdat
	.protected	_ZN4vllm17activation_kernelIN3c108BFloat16ETnPFT_RKS3_EXadL_ZNS_17gelu_quick_kernelIS2_EES3_S5_EEEEvPS3_PS4_i ; -- Begin function _ZN4vllm17activation_kernelIN3c108BFloat16ETnPFT_RKS3_EXadL_ZNS_17gelu_quick_kernelIS2_EES3_S5_EEEEvPS3_PS4_i
	.globl	_ZN4vllm17activation_kernelIN3c108BFloat16ETnPFT_RKS3_EXadL_ZNS_17gelu_quick_kernelIS2_EES3_S5_EEEEvPS3_PS4_i
	.p2align	8
	.type	_ZN4vllm17activation_kernelIN3c108BFloat16ETnPFT_RKS3_EXadL_ZNS_17gelu_quick_kernelIS2_EES3_S5_EEEEvPS3_PS4_i,@function
_ZN4vllm17activation_kernelIN3c108BFloat16ETnPFT_RKS3_EXadL_ZNS_17gelu_quick_kernelIS2_EES3_S5_EEEEvPS3_PS4_i: ; @_ZN4vllm17activation_kernelIN3c108BFloat16ETnPFT_RKS3_EXadL_ZNS_17gelu_quick_kernelIS2_EES3_S5_EEEEvPS3_PS4_i
; %bb.0:
	s_load_b32 s2, s[0:1], 0x10
	s_mov_b32 s3, exec_lo
	s_wait_kmcnt 0x0
	v_cmpx_gt_i32_e64 s2, v0
	s_cbranch_execz .LBB26_8
; %bb.1:
	v_dual_mov_b32 v1, 0 :: v_dual_add_nc_u32 v2, 1, v0
	s_clause 0x1
	s_load_b32 s9, s[0:1], 0x24
	s_load_b128 s[4:7], s[0:1], 0x0
	s_ashr_i32 s3, s2, 31
	v_mov_b32_e32 v3, v1
	s_mov_b32 s8, ttmp9
	s_wait_alu 0xfffe
	s_delay_alu instid0(VALU_DEP_1) | instskip(SKIP_2) | instid1(VALU_DEP_2)
	v_cmp_lt_i64_e32 vcc_lo, s[2:3], v[2:3]
	v_cndmask_b32_e32 v2, s2, v2, vcc_lo
	v_cndmask_b32_e64 v3, s3, 0, vcc_lo
	v_sub_co_u32 v2, vcc_lo, v2, v0
	s_wait_alu 0xfffd
	s_delay_alu instid0(VALU_DEP_2)
	v_subrev_co_ci_u32_e64 v3, null, 0, v3, vcc_lo
	s_wait_kmcnt 0x0
	s_and_b32 s12, s9, 0xffff
	s_mov_b32 s9, 0
	s_cmp_eq_u32 s12, 1
	v_cmp_lt_u64_e32 vcc_lo, 1, v[2:3]
	s_cselect_b32 s0, -1, 0
	s_mul_u64 s[10:11], s[2:3], s[8:9]
	s_and_b32 s1, vcc_lo, s0
	s_mov_b32 s0, -1
	s_and_saveexec_b32 s8, s1
	s_cbranch_execz .LBB26_5
; %bb.2:
	v_add_co_u32 v4, s0, v0, s10
	s_delay_alu instid0(VALU_DEP_1) | instskip(NEXT) | instid1(VALU_DEP_1)
	v_add_co_ci_u32_e64 v5, null, 0, s11, s0
	v_lshlrev_b64_e32 v[8:9], 1, v[4:5]
	v_dual_mov_b32 v5, v3 :: v_dual_and_b32 v4, -2, v2
	s_delay_alu instid0(VALU_DEP_2) | instskip(SKIP_1) | instid1(VALU_DEP_3)
	v_add_co_u32 v6, vcc_lo, s6, v8
	s_wait_alu 0xfffd
	v_add_co_ci_u32_e64 v7, null, s7, v9, vcc_lo
	v_add_co_u32 v8, vcc_lo, s4, v8
	s_wait_alu 0xfffd
	v_add_co_ci_u32_e64 v9, null, s5, v9, vcc_lo
	v_dual_mov_b32 v11, v5 :: v_dual_mov_b32 v10, v4
.LBB26_3:                               ; =>This Inner Loop Header: Depth=1
	global_load_b32 v1, v[6:7], off
	v_add_co_u32 v10, vcc_lo, v10, -2
	s_wait_alu 0xfffd
	v_add_co_ci_u32_e64 v11, null, -1, v11, vcc_lo
	v_add_co_u32 v6, vcc_lo, v6, 4
	s_wait_alu 0xfffd
	v_add_co_ci_u32_e64 v7, null, 0, v7, vcc_lo
	s_delay_alu instid0(VALU_DEP_3) | instskip(SKIP_4) | instid1(VALU_DEP_1)
	v_cmp_eq_u64_e64 s0, 0, v[10:11]
	s_or_b32 s9, s0, s9
	s_wait_loadcnt 0x0
	v_lshlrev_b32_e32 v12, 16, v1
	v_and_b32_e32 v1, 0xffff0000, v1
	v_dual_mul_f32 v13, 0xbfd9db23, v12 :: v_dual_mul_f32 v14, 0xbfd9db23, v1
	s_delay_alu instid0(VALU_DEP_1) | instskip(SKIP_2) | instid1(VALU_DEP_3)
	v_dual_mul_f32 v15, 0x3fb8aa3b, v13 :: v_dual_mul_f32 v16, 0x3fb8aa3b, v14
	v_cmp_ngt_f32_e32 vcc_lo, 0xc2ce8ed0, v14
	v_cmp_ngt_f32_e64 s1, 0xc2ce8ed0, v13
	v_fma_f32 v17, 0x3fb8aa3b, v13, -v15
	s_delay_alu instid0(VALU_DEP_4) | instskip(SKIP_2) | instid1(VALU_DEP_2)
	v_fma_f32 v19, 0x3fb8aa3b, v14, -v16
	v_rndne_f32_e32 v20, v16
	v_rndne_f32_e32 v18, v15
	v_dual_fmac_f32 v19, 0x32a5705f, v14 :: v_dual_sub_f32 v16, v16, v20
	v_fmac_f32_e32 v17, 0x32a5705f, v13
	s_delay_alu instid0(VALU_DEP_3) | instskip(SKIP_1) | instid1(VALU_DEP_2)
	v_sub_f32_e32 v15, v15, v18
	v_cvt_i32_f32_e32 v18, v18
	v_dual_add_f32 v16, v16, v19 :: v_dual_add_f32 v15, v15, v17
	v_cvt_i32_f32_e32 v17, v20
	s_delay_alu instid0(VALU_DEP_2) | instskip(NEXT) | instid1(TRANS32_DEP_1)
	v_exp_f32_e32 v16, v16
	v_ldexp_f32 v16, v16, v17
	s_wait_alu 0xfffd
	s_delay_alu instid0(VALU_DEP_1) | instskip(SKIP_2) | instid1(VALU_DEP_2)
	v_cndmask_b32_e32 v16, 0, v16, vcc_lo
	v_cmp_nlt_f32_e32 vcc_lo, 0x42b17218, v14
	s_wait_alu 0xfffd
	v_cndmask_b32_e32 v14, 0x7f800000, v16, vcc_lo
	v_exp_f32_e32 v15, v15
	s_delay_alu instid0(VALU_DEP_1) | instskip(NEXT) | instid1(VALU_DEP_1)
	v_add_f32_e32 v14, 1.0, v14
	v_div_scale_f32 v16, null, v14, v14, v1
	s_delay_alu instid0(TRANS32_DEP_1) | instskip(NEXT) | instid1(VALU_DEP_2)
	v_ldexp_f32 v15, v15, v18
	v_rcp_f32_e32 v19, v16
	s_wait_alu 0xf1ff
	s_delay_alu instid0(VALU_DEP_1) | instskip(SKIP_2) | instid1(VALU_DEP_1)
	v_cndmask_b32_e64 v15, 0, v15, s1
	v_cmp_nlt_f32_e64 s1, 0x42b17218, v13
	s_wait_alu 0xf1ff
	v_cndmask_b32_e64 v13, 0x7f800000, v15, s1
	v_div_scale_f32 v20, s1, v1, v14, v1
	s_delay_alu instid0(TRANS32_DEP_1) | instskip(NEXT) | instid1(VALU_DEP_3)
	v_fma_f32 v22, -v16, v19, 1.0
	v_add_f32_e32 v13, 1.0, v13
	s_delay_alu instid0(VALU_DEP_2) | instskip(NEXT) | instid1(VALU_DEP_2)
	v_fmac_f32_e32 v19, v22, v19
	v_div_scale_f32 v15, null, v13, v13, v12
	v_div_scale_f32 v17, vcc_lo, v12, v13, v12
	s_delay_alu instid0(VALU_DEP_3) | instskip(NEXT) | instid1(VALU_DEP_3)
	v_mul_f32_e32 v22, v20, v19
	v_rcp_f32_e32 v18, v15
	s_delay_alu instid0(VALU_DEP_1) | instskip(NEXT) | instid1(VALU_DEP_1)
	v_fma_f32 v24, -v16, v22, v20
	v_fmac_f32_e32 v22, v24, v19
	s_delay_alu instid0(TRANS32_DEP_1) | instskip(NEXT) | instid1(VALU_DEP_2)
	v_fma_f32 v21, -v15, v18, 1.0
	v_fma_f32 v16, -v16, v22, v20
	s_delay_alu instid0(VALU_DEP_2) | instskip(NEXT) | instid1(VALU_DEP_1)
	v_fmac_f32_e32 v18, v21, v18
	v_mul_f32_e32 v21, v17, v18
	s_delay_alu instid0(VALU_DEP_1) | instskip(NEXT) | instid1(VALU_DEP_1)
	v_fma_f32 v23, -v15, v21, v17
	v_fmac_f32_e32 v21, v23, v18
	s_delay_alu instid0(VALU_DEP_1) | instskip(SKIP_1) | instid1(VALU_DEP_1)
	v_fma_f32 v15, -v15, v21, v17
	s_wait_alu 0xfffd
	v_div_fmas_f32 v15, v15, v18, v21
	s_mov_b32 vcc_lo, s1
	s_wait_alu 0xfffe
	v_div_fmas_f32 v16, v16, v19, v22
	s_delay_alu instid0(VALU_DEP_2) | instskip(NEXT) | instid1(VALU_DEP_2)
	v_div_fixup_f32 v12, v15, v13, v12
	v_div_fixup_f32 v1, v16, v14, v1
	s_delay_alu instid0(VALU_DEP_2) | instskip(SKIP_1) | instid1(VALU_DEP_3)
	v_lshrrev_b32_e32 v13, 16, v12
	v_cmp_o_f32_e32 vcc_lo, v12, v12
	v_lshrrev_b32_e32 v14, 16, v1
	v_cmp_o_f32_e64 s1, v1, v1
	s_delay_alu instid0(VALU_DEP_4) | instskip(NEXT) | instid1(VALU_DEP_1)
	v_and_b32_e32 v13, 1, v13
	v_add3_u32 v13, v12, v13, 0x7fff
	s_delay_alu instid0(VALU_DEP_1) | instskip(SKIP_1) | instid1(VALU_DEP_1)
	v_lshrrev_b32_e32 v13, 16, v13
	v_and_b32_e32 v14, 1, v14
	v_add3_u32 v14, v1, v14, 0x7fff
	s_wait_alu 0xfffd
	s_delay_alu instid0(VALU_DEP_3) | instskip(NEXT) | instid1(VALU_DEP_2)
	v_cndmask_b32_e32 v1, 0x7fc0, v13, vcc_lo
	v_lshrrev_b32_e32 v12, 16, v14
	s_wait_alu 0xf1ff
	s_delay_alu instid0(VALU_DEP_1) | instskip(NEXT) | instid1(VALU_DEP_1)
	v_cndmask_b32_e64 v12, 0x7fc0, v12, s1
	v_perm_b32 v1, v12, v1, 0x5040100
	global_store_b32 v[8:9], v1, off
	v_add_co_u32 v8, vcc_lo, v8, 4
	s_wait_alu 0xfffd
	v_add_co_ci_u32_e64 v9, null, 0, v9, vcc_lo
	s_and_not1_b32 exec_lo, exec_lo, s9
	s_cbranch_execnz .LBB26_3
; %bb.4:
	s_or_b32 exec_lo, exec_lo, s9
	v_cmp_ne_u64_e32 vcc_lo, v[2:3], v[4:5]
	v_add_co_u32 v0, s0, v4, v0
	s_wait_alu 0xf1ff
	v_add_co_ci_u32_e64 v1, null, 0, v5, s0
	s_or_not1_b32 s0, vcc_lo, exec_lo
.LBB26_5:
	s_or_b32 exec_lo, exec_lo, s8
	s_wait_alu 0xfffe
	s_and_b32 exec_lo, exec_lo, s0
	s_cbranch_execz .LBB26_8
; %bb.6:
	v_add_co_u32 v2, vcc_lo, v0, s10
	s_wait_alu 0xfffd
	v_add_co_ci_u32_e64 v3, null, s11, v1, vcc_lo
	s_mov_b32 s8, 0
	s_lshl_b32 s9, s12, 1
	v_lshlrev_b64_e32 v[2:3], 1, v[2:3]
.LBB26_7:                               ; =>This Inner Loop Header: Depth=1
	s_delay_alu instid0(VALU_DEP_1) | instskip(SKIP_1) | instid1(VALU_DEP_2)
	v_add_co_u32 v4, vcc_lo, s6, v2
	s_wait_alu 0xfffd
	v_add_co_ci_u32_e64 v5, null, s7, v3, vcc_lo
	global_load_u16 v4, v[4:5], off
	s_wait_loadcnt 0x0
	v_lshlrev_b32_e32 v4, 16, v4
	s_delay_alu instid0(VALU_DEP_1) | instskip(NEXT) | instid1(VALU_DEP_1)
	v_mul_f32_e32 v5, 0xbfd9db23, v4
	v_mul_f32_e32 v6, 0x3fb8aa3b, v5
	s_delay_alu instid0(VALU_DEP_1) | instskip(SKIP_1) | instid1(VALU_DEP_1)
	v_fma_f32 v7, 0x3fb8aa3b, v5, -v6
	v_rndne_f32_e32 v8, v6
	v_dual_fmac_f32 v7, 0x32a5705f, v5 :: v_dual_sub_f32 v6, v6, v8
	s_delay_alu instid0(VALU_DEP_1) | instskip(SKIP_2) | instid1(VALU_DEP_3)
	v_add_f32_e32 v6, v6, v7
	v_cvt_i32_f32_e32 v7, v8
	v_cmp_ngt_f32_e32 vcc_lo, 0xc2ce8ed0, v5
	v_exp_f32_e32 v6, v6
	s_delay_alu instid0(TRANS32_DEP_1) | instskip(SKIP_1) | instid1(VALU_DEP_1)
	v_ldexp_f32 v6, v6, v7
	s_wait_alu 0xfffd
	v_cndmask_b32_e32 v6, 0, v6, vcc_lo
	v_cmp_nlt_f32_e32 vcc_lo, 0x42b17218, v5
	s_wait_alu 0xfffd
	s_delay_alu instid0(VALU_DEP_2) | instskip(NEXT) | instid1(VALU_DEP_1)
	v_cndmask_b32_e32 v5, 0x7f800000, v6, vcc_lo
	v_add_f32_e32 v5, 1.0, v5
	s_delay_alu instid0(VALU_DEP_1) | instskip(SKIP_1) | instid1(VALU_DEP_2)
	v_div_scale_f32 v6, null, v5, v5, v4
	v_div_scale_f32 v9, vcc_lo, v4, v5, v4
	v_rcp_f32_e32 v7, v6
	s_delay_alu instid0(TRANS32_DEP_1) | instskip(NEXT) | instid1(VALU_DEP_1)
	v_fma_f32 v8, -v6, v7, 1.0
	v_fmac_f32_e32 v7, v8, v7
	s_delay_alu instid0(VALU_DEP_1) | instskip(NEXT) | instid1(VALU_DEP_1)
	v_mul_f32_e32 v8, v9, v7
	v_fma_f32 v10, -v6, v8, v9
	s_delay_alu instid0(VALU_DEP_1) | instskip(NEXT) | instid1(VALU_DEP_1)
	v_fmac_f32_e32 v8, v10, v7
	v_fma_f32 v6, -v6, v8, v9
	s_wait_alu 0xfffd
	s_delay_alu instid0(VALU_DEP_1) | instskip(SKIP_3) | instid1(VALU_DEP_3)
	v_div_fmas_f32 v6, v6, v7, v8
	v_add_co_u32 v0, vcc_lo, v0, s12
	s_wait_alu 0xfffd
	v_add_co_ci_u32_e64 v1, null, 0, v1, vcc_lo
	v_div_fixup_f32 v6, v6, v5, v4
	s_delay_alu instid0(VALU_DEP_2) | instskip(NEXT) | instid1(VALU_DEP_2)
	v_cmp_le_i64_e64 s0, s[2:3], v[0:1]
	v_bfe_u32 v4, v6, 16, 1
	v_cmp_o_f32_e64 s1, v6, v6
	s_or_b32 s8, s0, s8
	v_add3_u32 v7, v6, v4, 0x7fff
	v_add_co_u32 v4, vcc_lo, s4, v2
	s_wait_alu 0xfffd
	v_add_co_ci_u32_e64 v5, null, s5, v3, vcc_lo
	s_delay_alu instid0(VALU_DEP_3) | instskip(SKIP_3) | instid1(VALU_DEP_3)
	v_lshrrev_b32_e32 v7, 16, v7
	v_add_co_u32 v2, vcc_lo, v2, s9
	s_wait_alu 0xfffd
	v_add_co_ci_u32_e64 v3, null, 0, v3, vcc_lo
	v_cndmask_b32_e64 v6, 0x7fc0, v7, s1
	global_store_b16 v[4:5], v6, off
	s_wait_alu 0xfffe
	s_and_not1_b32 exec_lo, exec_lo, s8
	s_cbranch_execnz .LBB26_7
.LBB26_8:
	s_endpgm
	.section	.rodata,"a",@progbits
	.p2align	6, 0x0
	.amdhsa_kernel _ZN4vllm17activation_kernelIN3c108BFloat16ETnPFT_RKS3_EXadL_ZNS_17gelu_quick_kernelIS2_EES3_S5_EEEEvPS3_PS4_i
		.amdhsa_group_segment_fixed_size 0
		.amdhsa_private_segment_fixed_size 0
		.amdhsa_kernarg_size 280
		.amdhsa_user_sgpr_count 2
		.amdhsa_user_sgpr_dispatch_ptr 0
		.amdhsa_user_sgpr_queue_ptr 0
		.amdhsa_user_sgpr_kernarg_segment_ptr 1
		.amdhsa_user_sgpr_dispatch_id 0
		.amdhsa_user_sgpr_private_segment_size 0
		.amdhsa_wavefront_size32 1
		.amdhsa_uses_dynamic_stack 0
		.amdhsa_enable_private_segment 0
		.amdhsa_system_sgpr_workgroup_id_x 1
		.amdhsa_system_sgpr_workgroup_id_y 0
		.amdhsa_system_sgpr_workgroup_id_z 0
		.amdhsa_system_sgpr_workgroup_info 0
		.amdhsa_system_vgpr_workitem_id 0
		.amdhsa_next_free_vgpr 25
		.amdhsa_next_free_sgpr 13
		.amdhsa_reserve_vcc 1
		.amdhsa_float_round_mode_32 0
		.amdhsa_float_round_mode_16_64 0
		.amdhsa_float_denorm_mode_32 3
		.amdhsa_float_denorm_mode_16_64 3
		.amdhsa_fp16_overflow 0
		.amdhsa_workgroup_processor_mode 1
		.amdhsa_memory_ordered 1
		.amdhsa_forward_progress 1
		.amdhsa_inst_pref_size 12
		.amdhsa_round_robin_scheduling 0
		.amdhsa_exception_fp_ieee_invalid_op 0
		.amdhsa_exception_fp_denorm_src 0
		.amdhsa_exception_fp_ieee_div_zero 0
		.amdhsa_exception_fp_ieee_overflow 0
		.amdhsa_exception_fp_ieee_underflow 0
		.amdhsa_exception_fp_ieee_inexact 0
		.amdhsa_exception_int_div_zero 0
	.end_amdhsa_kernel
	.section	.text._ZN4vllm17activation_kernelIN3c108BFloat16ETnPFT_RKS3_EXadL_ZNS_17gelu_quick_kernelIS2_EES3_S5_EEEEvPS3_PS4_i,"axG",@progbits,_ZN4vllm17activation_kernelIN3c108BFloat16ETnPFT_RKS3_EXadL_ZNS_17gelu_quick_kernelIS2_EES3_S5_EEEEvPS3_PS4_i,comdat
.Lfunc_end26:
	.size	_ZN4vllm17activation_kernelIN3c108BFloat16ETnPFT_RKS3_EXadL_ZNS_17gelu_quick_kernelIS2_EES3_S5_EEEEvPS3_PS4_i, .Lfunc_end26-_ZN4vllm17activation_kernelIN3c108BFloat16ETnPFT_RKS3_EXadL_ZNS_17gelu_quick_kernelIS2_EES3_S5_EEEEvPS3_PS4_i
                                        ; -- End function
	.set _ZN4vllm17activation_kernelIN3c108BFloat16ETnPFT_RKS3_EXadL_ZNS_17gelu_quick_kernelIS2_EES3_S5_EEEEvPS3_PS4_i.num_vgpr, 25
	.set _ZN4vllm17activation_kernelIN3c108BFloat16ETnPFT_RKS3_EXadL_ZNS_17gelu_quick_kernelIS2_EES3_S5_EEEEvPS3_PS4_i.num_agpr, 0
	.set _ZN4vllm17activation_kernelIN3c108BFloat16ETnPFT_RKS3_EXadL_ZNS_17gelu_quick_kernelIS2_EES3_S5_EEEEvPS3_PS4_i.numbered_sgpr, 13
	.set _ZN4vllm17activation_kernelIN3c108BFloat16ETnPFT_RKS3_EXadL_ZNS_17gelu_quick_kernelIS2_EES3_S5_EEEEvPS3_PS4_i.num_named_barrier, 0
	.set _ZN4vllm17activation_kernelIN3c108BFloat16ETnPFT_RKS3_EXadL_ZNS_17gelu_quick_kernelIS2_EES3_S5_EEEEvPS3_PS4_i.private_seg_size, 0
	.set _ZN4vllm17activation_kernelIN3c108BFloat16ETnPFT_RKS3_EXadL_ZNS_17gelu_quick_kernelIS2_EES3_S5_EEEEvPS3_PS4_i.uses_vcc, 1
	.set _ZN4vllm17activation_kernelIN3c108BFloat16ETnPFT_RKS3_EXadL_ZNS_17gelu_quick_kernelIS2_EES3_S5_EEEEvPS3_PS4_i.uses_flat_scratch, 0
	.set _ZN4vllm17activation_kernelIN3c108BFloat16ETnPFT_RKS3_EXadL_ZNS_17gelu_quick_kernelIS2_EES3_S5_EEEEvPS3_PS4_i.has_dyn_sized_stack, 0
	.set _ZN4vllm17activation_kernelIN3c108BFloat16ETnPFT_RKS3_EXadL_ZNS_17gelu_quick_kernelIS2_EES3_S5_EEEEvPS3_PS4_i.has_recursion, 0
	.set _ZN4vllm17activation_kernelIN3c108BFloat16ETnPFT_RKS3_EXadL_ZNS_17gelu_quick_kernelIS2_EES3_S5_EEEEvPS3_PS4_i.has_indirect_call, 0
	.section	.AMDGPU.csdata,"",@progbits
; Kernel info:
; codeLenInByte = 1428
; TotalNumSgprs: 15
; NumVgprs: 25
; ScratchSize: 0
; MemoryBound: 0
; FloatMode: 240
; IeeeMode: 1
; LDSByteSize: 0 bytes/workgroup (compile time only)
; SGPRBlocks: 0
; VGPRBlocks: 3
; NumSGPRsForWavesPerEU: 15
; NumVGPRsForWavesPerEU: 25
; Occupancy: 16
; WaveLimiterHint : 0
; COMPUTE_PGM_RSRC2:SCRATCH_EN: 0
; COMPUTE_PGM_RSRC2:USER_SGPR: 2
; COMPUTE_PGM_RSRC2:TRAP_HANDLER: 0
; COMPUTE_PGM_RSRC2:TGID_X_EN: 1
; COMPUTE_PGM_RSRC2:TGID_Y_EN: 0
; COMPUTE_PGM_RSRC2:TGID_Z_EN: 0
; COMPUTE_PGM_RSRC2:TIDIG_COMP_CNT: 0
	.section	.AMDGPU.gpr_maximums,"",@progbits
	.set amdgpu.max_num_vgpr, 0
	.set amdgpu.max_num_agpr, 0
	.set amdgpu.max_num_sgpr, 0
	.section	.AMDGPU.csdata,"",@progbits
	.type	__hip_cuid_b855a8d9c3b80125,@object ; @__hip_cuid_b855a8d9c3b80125
	.section	.bss,"aw",@nobits
	.globl	__hip_cuid_b855a8d9c3b80125
__hip_cuid_b855a8d9c3b80125:
	.byte	0                               ; 0x0
	.size	__hip_cuid_b855a8d9c3b80125, 1

	.ident	"AMD clang version 22.0.0git (https://github.com/RadeonOpenCompute/llvm-project roc-7.2.4 26084 f58b06dce1f9c15707c5f808fd002e18c2accf7e)"
	.section	".note.GNU-stack","",@progbits
	.addrsig
	.addrsig_sym __hip_cuid_b855a8d9c3b80125
	.amdgpu_metadata
---
amdhsa.kernels:
  - .args:
      - .actual_access:  write_only
        .address_space:  global
        .offset:         0
        .size:           8
        .value_kind:     global_buffer
      - .actual_access:  read_only
        .address_space:  global
        .offset:         8
        .size:           8
        .value_kind:     global_buffer
      - .offset:         16
        .size:           4
        .value_kind:     by_value
      - .offset:         24
        .size:           4
        .value_kind:     hidden_block_count_x
      - .offset:         28
        .size:           4
        .value_kind:     hidden_block_count_y
      - .offset:         32
        .size:           4
        .value_kind:     hidden_block_count_z
      - .offset:         36
        .size:           2
        .value_kind:     hidden_group_size_x
      - .offset:         38
        .size:           2
        .value_kind:     hidden_group_size_y
      - .offset:         40
        .size:           2
        .value_kind:     hidden_group_size_z
      - .offset:         42
        .size:           2
        .value_kind:     hidden_remainder_x
      - .offset:         44
        .size:           2
        .value_kind:     hidden_remainder_y
      - .offset:         46
        .size:           2
        .value_kind:     hidden_remainder_z
      - .offset:         64
        .size:           8
        .value_kind:     hidden_global_offset_x
      - .offset:         72
        .size:           8
        .value_kind:     hidden_global_offset_y
      - .offset:         80
        .size:           8
        .value_kind:     hidden_global_offset_z
      - .offset:         88
        .size:           2
        .value_kind:     hidden_grid_dims
    .group_segment_fixed_size: 0
    .kernarg_segment_align: 8
    .kernarg_segment_size: 280
    .language:       OpenCL C
    .language_version:
      - 2
      - 0
    .max_flat_workgroup_size: 1024
    .name:           _ZN4vllm18act_and_mul_kernelIfTnPFT_RKS1_EXadL_ZNS_11silu_kernelIfEES1_S3_EELb1EEEvPS1_PS2_i
    .private_segment_fixed_size: 0
    .sgpr_count:     17
    .sgpr_spill_count: 0
    .symbol:         _ZN4vllm18act_and_mul_kernelIfTnPFT_RKS1_EXadL_ZNS_11silu_kernelIfEES1_S3_EELb1EEEvPS1_PS2_i.kd
    .uniform_work_group_size: 1
    .uses_dynamic_stack: false
    .vgpr_count:     12
    .vgpr_spill_count: 0
    .wavefront_size: 32
    .workgroup_processor_mode: 1
  - .args:
      - .actual_access:  write_only
        .address_space:  global
        .offset:         0
        .size:           8
        .value_kind:     global_buffer
      - .actual_access:  read_only
        .address_space:  global
        .offset:         8
        .size:           8
        .value_kind:     global_buffer
      - .offset:         16
        .size:           4
        .value_kind:     by_value
      - .offset:         24
        .size:           4
        .value_kind:     hidden_block_count_x
      - .offset:         28
        .size:           4
        .value_kind:     hidden_block_count_y
      - .offset:         32
        .size:           4
        .value_kind:     hidden_block_count_z
      - .offset:         36
        .size:           2
        .value_kind:     hidden_group_size_x
      - .offset:         38
        .size:           2
        .value_kind:     hidden_group_size_y
      - .offset:         40
        .size:           2
        .value_kind:     hidden_group_size_z
      - .offset:         42
        .size:           2
        .value_kind:     hidden_remainder_x
      - .offset:         44
        .size:           2
        .value_kind:     hidden_remainder_y
      - .offset:         46
        .size:           2
        .value_kind:     hidden_remainder_z
      - .offset:         64
        .size:           8
        .value_kind:     hidden_global_offset_x
      - .offset:         72
        .size:           8
        .value_kind:     hidden_global_offset_y
      - .offset:         80
        .size:           8
        .value_kind:     hidden_global_offset_z
      - .offset:         88
        .size:           2
        .value_kind:     hidden_grid_dims
    .group_segment_fixed_size: 0
    .kernarg_segment_align: 8
    .kernarg_segment_size: 280
    .language:       OpenCL C
    .language_version:
      - 2
      - 0
    .max_flat_workgroup_size: 1024
    .name:           _ZN4vllm18act_and_mul_kernelIN3c104HalfETnPFT_RKS3_EXadL_ZNS_11silu_kernelIS2_EES3_S5_EELb1EEEvPS3_PS4_i
    .private_segment_fixed_size: 0
    .sgpr_count:     20
    .sgpr_spill_count: 0
    .symbol:         _ZN4vllm18act_and_mul_kernelIN3c104HalfETnPFT_RKS3_EXadL_ZNS_11silu_kernelIS2_EES3_S5_EELb1EEEvPS3_PS4_i.kd
    .uniform_work_group_size: 1
    .uses_dynamic_stack: false
    .vgpr_count:     28
    .vgpr_spill_count: 0
    .wavefront_size: 32
    .workgroup_processor_mode: 1
  - .args:
      - .actual_access:  write_only
        .address_space:  global
        .offset:         0
        .size:           8
        .value_kind:     global_buffer
      - .actual_access:  read_only
        .address_space:  global
        .offset:         8
        .size:           8
        .value_kind:     global_buffer
      - .offset:         16
        .size:           4
        .value_kind:     by_value
      - .offset:         24
        .size:           4
        .value_kind:     hidden_block_count_x
      - .offset:         28
        .size:           4
        .value_kind:     hidden_block_count_y
      - .offset:         32
        .size:           4
        .value_kind:     hidden_block_count_z
      - .offset:         36
        .size:           2
        .value_kind:     hidden_group_size_x
      - .offset:         38
        .size:           2
        .value_kind:     hidden_group_size_y
      - .offset:         40
        .size:           2
        .value_kind:     hidden_group_size_z
      - .offset:         42
        .size:           2
        .value_kind:     hidden_remainder_x
      - .offset:         44
        .size:           2
        .value_kind:     hidden_remainder_y
      - .offset:         46
        .size:           2
        .value_kind:     hidden_remainder_z
      - .offset:         64
        .size:           8
        .value_kind:     hidden_global_offset_x
      - .offset:         72
        .size:           8
        .value_kind:     hidden_global_offset_y
      - .offset:         80
        .size:           8
        .value_kind:     hidden_global_offset_z
      - .offset:         88
        .size:           2
        .value_kind:     hidden_grid_dims
    .group_segment_fixed_size: 0
    .kernarg_segment_align: 8
    .kernarg_segment_size: 280
    .language:       OpenCL C
    .language_version:
      - 2
      - 0
    .max_flat_workgroup_size: 1024
    .name:           _ZN4vllm18act_and_mul_kernelIN3c108BFloat16ETnPFT_RKS3_EXadL_ZNS_11silu_kernelIS2_EES3_S5_EELb1EEEvPS3_PS4_i
    .private_segment_fixed_size: 0
    .sgpr_count:     20
    .sgpr_spill_count: 0
    .symbol:         _ZN4vllm18act_and_mul_kernelIN3c108BFloat16ETnPFT_RKS3_EXadL_ZNS_11silu_kernelIS2_EES3_S5_EELb1EEEvPS3_PS4_i.kd
    .uniform_work_group_size: 1
    .uses_dynamic_stack: false
    .vgpr_count:     29
    .vgpr_spill_count: 0
    .wavefront_size: 32
    .workgroup_processor_mode: 1
  - .args:
      - .actual_access:  write_only
        .address_space:  global
        .offset:         0
        .size:           8
        .value_kind:     global_buffer
      - .actual_access:  read_only
        .address_space:  global
        .offset:         8
        .size:           8
        .value_kind:     global_buffer
      - .offset:         16
        .size:           4
        .value_kind:     by_value
      - .offset:         24
        .size:           4
        .value_kind:     hidden_block_count_x
      - .offset:         28
        .size:           4
        .value_kind:     hidden_block_count_y
      - .offset:         32
        .size:           4
        .value_kind:     hidden_block_count_z
      - .offset:         36
        .size:           2
        .value_kind:     hidden_group_size_x
      - .offset:         38
        .size:           2
        .value_kind:     hidden_group_size_y
      - .offset:         40
        .size:           2
        .value_kind:     hidden_group_size_z
      - .offset:         42
        .size:           2
        .value_kind:     hidden_remainder_x
      - .offset:         44
        .size:           2
        .value_kind:     hidden_remainder_y
      - .offset:         46
        .size:           2
        .value_kind:     hidden_remainder_z
      - .offset:         64
        .size:           8
        .value_kind:     hidden_global_offset_x
      - .offset:         72
        .size:           8
        .value_kind:     hidden_global_offset_y
      - .offset:         80
        .size:           8
        .value_kind:     hidden_global_offset_z
      - .offset:         88
        .size:           2
        .value_kind:     hidden_grid_dims
    .group_segment_fixed_size: 0
    .kernarg_segment_align: 8
    .kernarg_segment_size: 280
    .language:       OpenCL C
    .language_version:
      - 2
      - 0
    .max_flat_workgroup_size: 1024
    .name:           _ZN4vllm18act_and_mul_kernelIfTnPFT_RKS1_EXadL_ZNS_11silu_kernelIfEES1_S3_EELb0EEEvPS1_PS2_i
    .private_segment_fixed_size: 0
    .sgpr_count:     17
    .sgpr_spill_count: 0
    .symbol:         _ZN4vllm18act_and_mul_kernelIfTnPFT_RKS1_EXadL_ZNS_11silu_kernelIfEES1_S3_EELb0EEEvPS1_PS2_i.kd
    .uniform_work_group_size: 1
    .uses_dynamic_stack: false
    .vgpr_count:     12
    .vgpr_spill_count: 0
    .wavefront_size: 32
    .workgroup_processor_mode: 1
  - .args:
      - .actual_access:  write_only
        .address_space:  global
        .offset:         0
        .size:           8
        .value_kind:     global_buffer
      - .actual_access:  read_only
        .address_space:  global
        .offset:         8
        .size:           8
        .value_kind:     global_buffer
      - .offset:         16
        .size:           4
        .value_kind:     by_value
      - .offset:         24
        .size:           4
        .value_kind:     hidden_block_count_x
      - .offset:         28
        .size:           4
        .value_kind:     hidden_block_count_y
      - .offset:         32
        .size:           4
        .value_kind:     hidden_block_count_z
      - .offset:         36
        .size:           2
        .value_kind:     hidden_group_size_x
      - .offset:         38
        .size:           2
        .value_kind:     hidden_group_size_y
      - .offset:         40
        .size:           2
        .value_kind:     hidden_group_size_z
      - .offset:         42
        .size:           2
        .value_kind:     hidden_remainder_x
      - .offset:         44
        .size:           2
        .value_kind:     hidden_remainder_y
      - .offset:         46
        .size:           2
        .value_kind:     hidden_remainder_z
      - .offset:         64
        .size:           8
        .value_kind:     hidden_global_offset_x
      - .offset:         72
        .size:           8
        .value_kind:     hidden_global_offset_y
      - .offset:         80
        .size:           8
        .value_kind:     hidden_global_offset_z
      - .offset:         88
        .size:           2
        .value_kind:     hidden_grid_dims
    .group_segment_fixed_size: 0
    .kernarg_segment_align: 8
    .kernarg_segment_size: 280
    .language:       OpenCL C
    .language_version:
      - 2
      - 0
    .max_flat_workgroup_size: 1024
    .name:           _ZN4vllm18act_and_mul_kernelIN3c104HalfETnPFT_RKS3_EXadL_ZNS_11silu_kernelIS2_EES3_S5_EELb0EEEvPS3_PS4_i
    .private_segment_fixed_size: 0
    .sgpr_count:     20
    .sgpr_spill_count: 0
    .symbol:         _ZN4vllm18act_and_mul_kernelIN3c104HalfETnPFT_RKS3_EXadL_ZNS_11silu_kernelIS2_EES3_S5_EELb0EEEvPS3_PS4_i.kd
    .uniform_work_group_size: 1
    .uses_dynamic_stack: false
    .vgpr_count:     28
    .vgpr_spill_count: 0
    .wavefront_size: 32
    .workgroup_processor_mode: 1
  - .args:
      - .actual_access:  write_only
        .address_space:  global
        .offset:         0
        .size:           8
        .value_kind:     global_buffer
      - .actual_access:  read_only
        .address_space:  global
        .offset:         8
        .size:           8
        .value_kind:     global_buffer
      - .offset:         16
        .size:           4
        .value_kind:     by_value
      - .offset:         24
        .size:           4
        .value_kind:     hidden_block_count_x
      - .offset:         28
        .size:           4
        .value_kind:     hidden_block_count_y
      - .offset:         32
        .size:           4
        .value_kind:     hidden_block_count_z
      - .offset:         36
        .size:           2
        .value_kind:     hidden_group_size_x
      - .offset:         38
        .size:           2
        .value_kind:     hidden_group_size_y
      - .offset:         40
        .size:           2
        .value_kind:     hidden_group_size_z
      - .offset:         42
        .size:           2
        .value_kind:     hidden_remainder_x
      - .offset:         44
        .size:           2
        .value_kind:     hidden_remainder_y
      - .offset:         46
        .size:           2
        .value_kind:     hidden_remainder_z
      - .offset:         64
        .size:           8
        .value_kind:     hidden_global_offset_x
      - .offset:         72
        .size:           8
        .value_kind:     hidden_global_offset_y
      - .offset:         80
        .size:           8
        .value_kind:     hidden_global_offset_z
      - .offset:         88
        .size:           2
        .value_kind:     hidden_grid_dims
    .group_segment_fixed_size: 0
    .kernarg_segment_align: 8
    .kernarg_segment_size: 280
    .language:       OpenCL C
    .language_version:
      - 2
      - 0
    .max_flat_workgroup_size: 1024
    .name:           _ZN4vllm18act_and_mul_kernelIN3c108BFloat16ETnPFT_RKS3_EXadL_ZNS_11silu_kernelIS2_EES3_S5_EELb0EEEvPS3_PS4_i
    .private_segment_fixed_size: 0
    .sgpr_count:     20
    .sgpr_spill_count: 0
    .symbol:         _ZN4vllm18act_and_mul_kernelIN3c108BFloat16ETnPFT_RKS3_EXadL_ZNS_11silu_kernelIS2_EES3_S5_EELb0EEEvPS3_PS4_i.kd
    .uniform_work_group_size: 1
    .uses_dynamic_stack: false
    .vgpr_count:     29
    .vgpr_spill_count: 0
    .wavefront_size: 32
    .workgroup_processor_mode: 1
  - .args:
      - .actual_access:  write_only
        .address_space:  global
        .offset:         0
        .size:           8
        .value_kind:     global_buffer
      - .actual_access:  read_only
        .address_space:  global
        .offset:         8
        .size:           8
        .value_kind:     global_buffer
      - .offset:         16
        .size:           4
        .value_kind:     by_value
      - .offset:         24
        .size:           4
        .value_kind:     hidden_block_count_x
      - .offset:         28
        .size:           4
        .value_kind:     hidden_block_count_y
      - .offset:         32
        .size:           4
        .value_kind:     hidden_block_count_z
      - .offset:         36
        .size:           2
        .value_kind:     hidden_group_size_x
      - .offset:         38
        .size:           2
        .value_kind:     hidden_group_size_y
      - .offset:         40
        .size:           2
        .value_kind:     hidden_group_size_z
      - .offset:         42
        .size:           2
        .value_kind:     hidden_remainder_x
      - .offset:         44
        .size:           2
        .value_kind:     hidden_remainder_y
      - .offset:         46
        .size:           2
        .value_kind:     hidden_remainder_z
      - .offset:         64
        .size:           8
        .value_kind:     hidden_global_offset_x
      - .offset:         72
        .size:           8
        .value_kind:     hidden_global_offset_y
      - .offset:         80
        .size:           8
        .value_kind:     hidden_global_offset_z
      - .offset:         88
        .size:           2
        .value_kind:     hidden_grid_dims
    .group_segment_fixed_size: 0
    .kernarg_segment_align: 8
    .kernarg_segment_size: 280
    .language:       OpenCL C
    .language_version:
      - 2
      - 0
    .max_flat_workgroup_size: 1024
    .name:           _ZN4vllm18act_and_mul_kernelIfTnPFT_RKS1_EXadL_ZNS_11gelu_kernelIfEES1_S3_EELb1EEEvPS1_PS2_i
    .private_segment_fixed_size: 0
    .sgpr_count:     20
    .sgpr_spill_count: 0
    .symbol:         _ZN4vllm18act_and_mul_kernelIfTnPFT_RKS1_EXadL_ZNS_11gelu_kernelIfEES1_S3_EELb1EEEvPS1_PS2_i.kd
    .uniform_work_group_size: 1
    .uses_dynamic_stack: false
    .vgpr_count:     11
    .vgpr_spill_count: 0
    .wavefront_size: 32
    .workgroup_processor_mode: 1
  - .args:
      - .actual_access:  write_only
        .address_space:  global
        .offset:         0
        .size:           8
        .value_kind:     global_buffer
      - .actual_access:  read_only
        .address_space:  global
        .offset:         8
        .size:           8
        .value_kind:     global_buffer
      - .offset:         16
        .size:           4
        .value_kind:     by_value
      - .offset:         24
        .size:           4
        .value_kind:     hidden_block_count_x
      - .offset:         28
        .size:           4
        .value_kind:     hidden_block_count_y
      - .offset:         32
        .size:           4
        .value_kind:     hidden_block_count_z
      - .offset:         36
        .size:           2
        .value_kind:     hidden_group_size_x
      - .offset:         38
        .size:           2
        .value_kind:     hidden_group_size_y
      - .offset:         40
        .size:           2
        .value_kind:     hidden_group_size_z
      - .offset:         42
        .size:           2
        .value_kind:     hidden_remainder_x
      - .offset:         44
        .size:           2
        .value_kind:     hidden_remainder_y
      - .offset:         46
        .size:           2
        .value_kind:     hidden_remainder_z
      - .offset:         64
        .size:           8
        .value_kind:     hidden_global_offset_x
      - .offset:         72
        .size:           8
        .value_kind:     hidden_global_offset_y
      - .offset:         80
        .size:           8
        .value_kind:     hidden_global_offset_z
      - .offset:         88
        .size:           2
        .value_kind:     hidden_grid_dims
    .group_segment_fixed_size: 0
    .kernarg_segment_align: 8
    .kernarg_segment_size: 280
    .language:       OpenCL C
    .language_version:
      - 2
      - 0
    .max_flat_workgroup_size: 1024
    .name:           _ZN4vllm18act_and_mul_kernelIN3c104HalfETnPFT_RKS3_EXadL_ZNS_11gelu_kernelIS2_EES3_S5_EELb1EEEvPS3_PS4_i
    .private_segment_fixed_size: 0
    .sgpr_count:     20
    .sgpr_spill_count: 0
    .symbol:         _ZN4vllm18act_and_mul_kernelIN3c104HalfETnPFT_RKS3_EXadL_ZNS_11gelu_kernelIS2_EES3_S5_EELb1EEEvPS3_PS4_i.kd
    .uniform_work_group_size: 1
    .uses_dynamic_stack: false
    .vgpr_count:     28
    .vgpr_spill_count: 0
    .wavefront_size: 32
    .workgroup_processor_mode: 1
  - .args:
      - .actual_access:  write_only
        .address_space:  global
        .offset:         0
        .size:           8
        .value_kind:     global_buffer
      - .actual_access:  read_only
        .address_space:  global
        .offset:         8
        .size:           8
        .value_kind:     global_buffer
      - .offset:         16
        .size:           4
        .value_kind:     by_value
      - .offset:         24
        .size:           4
        .value_kind:     hidden_block_count_x
      - .offset:         28
        .size:           4
        .value_kind:     hidden_block_count_y
      - .offset:         32
        .size:           4
        .value_kind:     hidden_block_count_z
      - .offset:         36
        .size:           2
        .value_kind:     hidden_group_size_x
      - .offset:         38
        .size:           2
        .value_kind:     hidden_group_size_y
      - .offset:         40
        .size:           2
        .value_kind:     hidden_group_size_z
      - .offset:         42
        .size:           2
        .value_kind:     hidden_remainder_x
      - .offset:         44
        .size:           2
        .value_kind:     hidden_remainder_y
      - .offset:         46
        .size:           2
        .value_kind:     hidden_remainder_z
      - .offset:         64
        .size:           8
        .value_kind:     hidden_global_offset_x
      - .offset:         72
        .size:           8
        .value_kind:     hidden_global_offset_y
      - .offset:         80
        .size:           8
        .value_kind:     hidden_global_offset_z
      - .offset:         88
        .size:           2
        .value_kind:     hidden_grid_dims
    .group_segment_fixed_size: 0
    .kernarg_segment_align: 8
    .kernarg_segment_size: 280
    .language:       OpenCL C
    .language_version:
      - 2
      - 0
    .max_flat_workgroup_size: 1024
    .name:           _ZN4vllm18act_and_mul_kernelIN3c108BFloat16ETnPFT_RKS3_EXadL_ZNS_11gelu_kernelIS2_EES3_S5_EELb1EEEvPS3_PS4_i
    .private_segment_fixed_size: 0
    .sgpr_count:     20
    .sgpr_spill_count: 0
    .symbol:         _ZN4vllm18act_and_mul_kernelIN3c108BFloat16ETnPFT_RKS3_EXadL_ZNS_11gelu_kernelIS2_EES3_S5_EELb1EEEvPS3_PS4_i.kd
    .uniform_work_group_size: 1
    .uses_dynamic_stack: false
    .vgpr_count:     29
    .vgpr_spill_count: 0
    .wavefront_size: 32
    .workgroup_processor_mode: 1
  - .args:
      - .actual_access:  write_only
        .address_space:  global
        .offset:         0
        .size:           8
        .value_kind:     global_buffer
      - .actual_access:  read_only
        .address_space:  global
        .offset:         8
        .size:           8
        .value_kind:     global_buffer
      - .offset:         16
        .size:           4
        .value_kind:     by_value
      - .offset:         24
        .size:           4
        .value_kind:     hidden_block_count_x
      - .offset:         28
        .size:           4
        .value_kind:     hidden_block_count_y
      - .offset:         32
        .size:           4
        .value_kind:     hidden_block_count_z
      - .offset:         36
        .size:           2
        .value_kind:     hidden_group_size_x
      - .offset:         38
        .size:           2
        .value_kind:     hidden_group_size_y
      - .offset:         40
        .size:           2
        .value_kind:     hidden_group_size_z
      - .offset:         42
        .size:           2
        .value_kind:     hidden_remainder_x
      - .offset:         44
        .size:           2
        .value_kind:     hidden_remainder_y
      - .offset:         46
        .size:           2
        .value_kind:     hidden_remainder_z
      - .offset:         64
        .size:           8
        .value_kind:     hidden_global_offset_x
      - .offset:         72
        .size:           8
        .value_kind:     hidden_global_offset_y
      - .offset:         80
        .size:           8
        .value_kind:     hidden_global_offset_z
      - .offset:         88
        .size:           2
        .value_kind:     hidden_grid_dims
    .group_segment_fixed_size: 0
    .kernarg_segment_align: 8
    .kernarg_segment_size: 280
    .language:       OpenCL C
    .language_version:
      - 2
      - 0
    .max_flat_workgroup_size: 1024
    .name:           _ZN4vllm18act_and_mul_kernelIfTnPFT_RKS1_EXadL_ZNS_16gelu_tanh_kernelIfEES1_S3_EELb1EEEvPS1_PS2_i
    .private_segment_fixed_size: 0
    .sgpr_count:     17
    .sgpr_spill_count: 0
    .symbol:         _ZN4vllm18act_and_mul_kernelIfTnPFT_RKS1_EXadL_ZNS_16gelu_tanh_kernelIfEES1_S3_EELb1EEEvPS1_PS2_i.kd
    .uniform_work_group_size: 1
    .uses_dynamic_stack: false
    .vgpr_count:     11
    .vgpr_spill_count: 0
    .wavefront_size: 32
    .workgroup_processor_mode: 1
  - .args:
      - .actual_access:  write_only
        .address_space:  global
        .offset:         0
        .size:           8
        .value_kind:     global_buffer
      - .actual_access:  read_only
        .address_space:  global
        .offset:         8
        .size:           8
        .value_kind:     global_buffer
      - .offset:         16
        .size:           4
        .value_kind:     by_value
      - .offset:         24
        .size:           4
        .value_kind:     hidden_block_count_x
      - .offset:         28
        .size:           4
        .value_kind:     hidden_block_count_y
      - .offset:         32
        .size:           4
        .value_kind:     hidden_block_count_z
      - .offset:         36
        .size:           2
        .value_kind:     hidden_group_size_x
      - .offset:         38
        .size:           2
        .value_kind:     hidden_group_size_y
      - .offset:         40
        .size:           2
        .value_kind:     hidden_group_size_z
      - .offset:         42
        .size:           2
        .value_kind:     hidden_remainder_x
      - .offset:         44
        .size:           2
        .value_kind:     hidden_remainder_y
      - .offset:         46
        .size:           2
        .value_kind:     hidden_remainder_z
      - .offset:         64
        .size:           8
        .value_kind:     hidden_global_offset_x
      - .offset:         72
        .size:           8
        .value_kind:     hidden_global_offset_y
      - .offset:         80
        .size:           8
        .value_kind:     hidden_global_offset_z
      - .offset:         88
        .size:           2
        .value_kind:     hidden_grid_dims
    .group_segment_fixed_size: 0
    .kernarg_segment_align: 8
    .kernarg_segment_size: 280
    .language:       OpenCL C
    .language_version:
      - 2
      - 0
    .max_flat_workgroup_size: 1024
    .name:           _ZN4vllm18act_and_mul_kernelIN3c104HalfETnPFT_RKS3_EXadL_ZNS_16gelu_tanh_kernelIS2_EES3_S5_EELb1EEEvPS3_PS4_i
    .private_segment_fixed_size: 0
    .sgpr_count:     20
    .sgpr_spill_count: 0
    .symbol:         _ZN4vllm18act_and_mul_kernelIN3c104HalfETnPFT_RKS3_EXadL_ZNS_16gelu_tanh_kernelIS2_EES3_S5_EELb1EEEvPS3_PS4_i.kd
    .uniform_work_group_size: 1
    .uses_dynamic_stack: false
    .vgpr_count:     11
    .vgpr_spill_count: 0
    .wavefront_size: 32
    .workgroup_processor_mode: 1
  - .args:
      - .actual_access:  write_only
        .address_space:  global
        .offset:         0
        .size:           8
        .value_kind:     global_buffer
      - .actual_access:  read_only
        .address_space:  global
        .offset:         8
        .size:           8
        .value_kind:     global_buffer
      - .offset:         16
        .size:           4
        .value_kind:     by_value
      - .offset:         24
        .size:           4
        .value_kind:     hidden_block_count_x
      - .offset:         28
        .size:           4
        .value_kind:     hidden_block_count_y
      - .offset:         32
        .size:           4
        .value_kind:     hidden_block_count_z
      - .offset:         36
        .size:           2
        .value_kind:     hidden_group_size_x
      - .offset:         38
        .size:           2
        .value_kind:     hidden_group_size_y
      - .offset:         40
        .size:           2
        .value_kind:     hidden_group_size_z
      - .offset:         42
        .size:           2
        .value_kind:     hidden_remainder_x
      - .offset:         44
        .size:           2
        .value_kind:     hidden_remainder_y
      - .offset:         46
        .size:           2
        .value_kind:     hidden_remainder_z
      - .offset:         64
        .size:           8
        .value_kind:     hidden_global_offset_x
      - .offset:         72
        .size:           8
        .value_kind:     hidden_global_offset_y
      - .offset:         80
        .size:           8
        .value_kind:     hidden_global_offset_z
      - .offset:         88
        .size:           2
        .value_kind:     hidden_grid_dims
    .group_segment_fixed_size: 0
    .kernarg_segment_align: 8
    .kernarg_segment_size: 280
    .language:       OpenCL C
    .language_version:
      - 2
      - 0
    .max_flat_workgroup_size: 1024
    .name:           _ZN4vllm18act_and_mul_kernelIN3c108BFloat16ETnPFT_RKS3_EXadL_ZNS_16gelu_tanh_kernelIS2_EES3_S5_EELb1EEEvPS3_PS4_i
    .private_segment_fixed_size: 0
    .sgpr_count:     17
    .sgpr_spill_count: 0
    .symbol:         _ZN4vllm18act_and_mul_kernelIN3c108BFloat16ETnPFT_RKS3_EXadL_ZNS_16gelu_tanh_kernelIS2_EES3_S5_EELb1EEEvPS3_PS4_i.kd
    .uniform_work_group_size: 1
    .uses_dynamic_stack: false
    .vgpr_count:     11
    .vgpr_spill_count: 0
    .wavefront_size: 32
    .workgroup_processor_mode: 1
  - .args:
      - .actual_access:  write_only
        .address_space:  global
        .offset:         0
        .size:           8
        .value_kind:     global_buffer
      - .actual_access:  read_only
        .address_space:  global
        .offset:         8
        .size:           8
        .value_kind:     global_buffer
      - .offset:         16
        .size:           4
        .value_kind:     by_value
      - .offset:         20
        .size:           4
        .value_kind:     by_value
      - .offset:         24
        .size:           4
        .value_kind:     hidden_block_count_x
      - .offset:         28
        .size:           4
        .value_kind:     hidden_block_count_y
      - .offset:         32
        .size:           4
        .value_kind:     hidden_block_count_z
      - .offset:         36
        .size:           2
        .value_kind:     hidden_group_size_x
      - .offset:         38
        .size:           2
        .value_kind:     hidden_group_size_y
      - .offset:         40
        .size:           2
        .value_kind:     hidden_group_size_z
      - .offset:         42
        .size:           2
        .value_kind:     hidden_remainder_x
      - .offset:         44
        .size:           2
        .value_kind:     hidden_remainder_y
      - .offset:         46
        .size:           2
        .value_kind:     hidden_remainder_z
      - .offset:         64
        .size:           8
        .value_kind:     hidden_global_offset_x
      - .offset:         72
        .size:           8
        .value_kind:     hidden_global_offset_y
      - .offset:         80
        .size:           8
        .value_kind:     hidden_global_offset_z
      - .offset:         88
        .size:           2
        .value_kind:     hidden_grid_dims
    .group_segment_fixed_size: 0
    .kernarg_segment_align: 8
    .kernarg_segment_size: 280
    .language:       OpenCL C
    .language_version:
      - 2
      - 0
    .max_flat_workgroup_size: 1024
    .name:           _ZN4vllm29act_and_mul_kernel_with_paramIfTnPFT_RKS1_fEXadL_ZNS_14fatrelu_kernelIfEES1_S3_fEEEEvPS1_PS2_if
    .private_segment_fixed_size: 0
    .sgpr_count:     21
    .sgpr_spill_count: 0
    .symbol:         _ZN4vllm29act_and_mul_kernel_with_paramIfTnPFT_RKS1_fEXadL_ZNS_14fatrelu_kernelIfEES1_S3_fEEEEvPS1_PS2_if.kd
    .uniform_work_group_size: 1
    .uses_dynamic_stack: false
    .vgpr_count:     9
    .vgpr_spill_count: 0
    .wavefront_size: 32
    .workgroup_processor_mode: 1
  - .args:
      - .actual_access:  write_only
        .address_space:  global
        .offset:         0
        .size:           8
        .value_kind:     global_buffer
      - .actual_access:  read_only
        .address_space:  global
        .offset:         8
        .size:           8
        .value_kind:     global_buffer
      - .offset:         16
        .size:           4
        .value_kind:     by_value
      - .offset:         20
        .size:           4
        .value_kind:     by_value
      - .offset:         24
        .size:           4
        .value_kind:     hidden_block_count_x
      - .offset:         28
        .size:           4
        .value_kind:     hidden_block_count_y
      - .offset:         32
        .size:           4
        .value_kind:     hidden_block_count_z
      - .offset:         36
        .size:           2
        .value_kind:     hidden_group_size_x
      - .offset:         38
        .size:           2
        .value_kind:     hidden_group_size_y
      - .offset:         40
        .size:           2
        .value_kind:     hidden_group_size_z
      - .offset:         42
        .size:           2
        .value_kind:     hidden_remainder_x
      - .offset:         44
        .size:           2
        .value_kind:     hidden_remainder_y
      - .offset:         46
        .size:           2
        .value_kind:     hidden_remainder_z
      - .offset:         64
        .size:           8
        .value_kind:     hidden_global_offset_x
      - .offset:         72
        .size:           8
        .value_kind:     hidden_global_offset_y
      - .offset:         80
        .size:           8
        .value_kind:     hidden_global_offset_z
      - .offset:         88
        .size:           2
        .value_kind:     hidden_grid_dims
    .group_segment_fixed_size: 0
    .kernarg_segment_align: 8
    .kernarg_segment_size: 280
    .language:       OpenCL C
    .language_version:
      - 2
      - 0
    .max_flat_workgroup_size: 1024
    .name:           _ZN4vllm29act_and_mul_kernel_with_paramIN3c104HalfETnPFT_RKS3_fEXadL_ZNS_14fatrelu_kernelIS2_EES3_S5_fEEEEvPS3_PS4_if
    .private_segment_fixed_size: 0
    .sgpr_count:     22
    .sgpr_spill_count: 0
    .symbol:         _ZN4vllm29act_and_mul_kernel_with_paramIN3c104HalfETnPFT_RKS3_fEXadL_ZNS_14fatrelu_kernelIS2_EES3_S5_fEEEEvPS3_PS4_if.kd
    .uniform_work_group_size: 1
    .uses_dynamic_stack: false
    .vgpr_count:     18
    .vgpr_spill_count: 0
    .wavefront_size: 32
    .workgroup_processor_mode: 1
  - .args:
      - .actual_access:  write_only
        .address_space:  global
        .offset:         0
        .size:           8
        .value_kind:     global_buffer
      - .actual_access:  read_only
        .address_space:  global
        .offset:         8
        .size:           8
        .value_kind:     global_buffer
      - .offset:         16
        .size:           4
        .value_kind:     by_value
      - .offset:         20
        .size:           4
        .value_kind:     by_value
      - .offset:         24
        .size:           4
        .value_kind:     hidden_block_count_x
      - .offset:         28
        .size:           4
        .value_kind:     hidden_block_count_y
      - .offset:         32
        .size:           4
        .value_kind:     hidden_block_count_z
      - .offset:         36
        .size:           2
        .value_kind:     hidden_group_size_x
      - .offset:         38
        .size:           2
        .value_kind:     hidden_group_size_y
      - .offset:         40
        .size:           2
        .value_kind:     hidden_group_size_z
      - .offset:         42
        .size:           2
        .value_kind:     hidden_remainder_x
      - .offset:         44
        .size:           2
        .value_kind:     hidden_remainder_y
      - .offset:         46
        .size:           2
        .value_kind:     hidden_remainder_z
      - .offset:         64
        .size:           8
        .value_kind:     hidden_global_offset_x
      - .offset:         72
        .size:           8
        .value_kind:     hidden_global_offset_y
      - .offset:         80
        .size:           8
        .value_kind:     hidden_global_offset_z
      - .offset:         88
        .size:           2
        .value_kind:     hidden_grid_dims
    .group_segment_fixed_size: 0
    .kernarg_segment_align: 8
    .kernarg_segment_size: 280
    .language:       OpenCL C
    .language_version:
      - 2
      - 0
    .max_flat_workgroup_size: 1024
    .name:           _ZN4vllm29act_and_mul_kernel_with_paramIN3c108BFloat16ETnPFT_RKS3_fEXadL_ZNS_14fatrelu_kernelIS2_EES3_S5_fEEEEvPS3_PS4_if
    .private_segment_fixed_size: 0
    .sgpr_count:     22
    .sgpr_spill_count: 0
    .symbol:         _ZN4vllm29act_and_mul_kernel_with_paramIN3c108BFloat16ETnPFT_RKS3_fEXadL_ZNS_14fatrelu_kernelIS2_EES3_S5_fEEEEvPS3_PS4_if.kd
    .uniform_work_group_size: 1
    .uses_dynamic_stack: false
    .vgpr_count:     19
    .vgpr_spill_count: 0
    .wavefront_size: 32
    .workgroup_processor_mode: 1
  - .args:
      - .actual_access:  write_only
        .address_space:  global
        .offset:         0
        .size:           8
        .value_kind:     global_buffer
      - .actual_access:  read_only
        .address_space:  global
        .offset:         8
        .size:           8
        .value_kind:     global_buffer
      - .offset:         16
        .size:           4
        .value_kind:     by_value
      - .offset:         20
        .size:           4
        .value_kind:     by_value
      - .offset:         24
        .size:           4
        .value_kind:     by_value
      - .offset:         32
        .size:           4
        .value_kind:     hidden_block_count_x
      - .offset:         36
        .size:           4
        .value_kind:     hidden_block_count_y
      - .offset:         40
        .size:           4
        .value_kind:     hidden_block_count_z
      - .offset:         44
        .size:           2
        .value_kind:     hidden_group_size_x
      - .offset:         46
        .size:           2
        .value_kind:     hidden_group_size_y
      - .offset:         48
        .size:           2
        .value_kind:     hidden_group_size_z
      - .offset:         50
        .size:           2
        .value_kind:     hidden_remainder_x
      - .offset:         52
        .size:           2
        .value_kind:     hidden_remainder_y
      - .offset:         54
        .size:           2
        .value_kind:     hidden_remainder_z
      - .offset:         72
        .size:           8
        .value_kind:     hidden_global_offset_x
      - .offset:         80
        .size:           8
        .value_kind:     hidden_global_offset_y
      - .offset:         88
        .size:           8
        .value_kind:     hidden_global_offset_z
      - .offset:         96
        .size:           2
        .value_kind:     hidden_grid_dims
    .group_segment_fixed_size: 0
    .kernarg_segment_align: 8
    .kernarg_segment_size: 288
    .language:       OpenCL C
    .language_version:
      - 2
      - 0
    .max_flat_workgroup_size: 1024
    .name:           _ZN4vllm24swigluoai_and_mul_kernelIfTnPFT_RKS1_S3_ffEXadL_ZNS_17swigluoai_and_mulIfEES1_S3_S3_ffEEEEvPS1_PS2_iff
    .private_segment_fixed_size: 0
    .sgpr_count:     18
    .sgpr_spill_count: 0
    .symbol:         _ZN4vllm24swigluoai_and_mul_kernelIfTnPFT_RKS1_S3_ffEXadL_ZNS_17swigluoai_and_mulIfEES1_S3_S3_ffEEEEvPS1_PS2_iff.kd
    .uniform_work_group_size: 1
    .uses_dynamic_stack: false
    .vgpr_count:     14
    .vgpr_spill_count: 0
    .wavefront_size: 32
    .workgroup_processor_mode: 1
  - .args:
      - .actual_access:  write_only
        .address_space:  global
        .offset:         0
        .size:           8
        .value_kind:     global_buffer
      - .actual_access:  read_only
        .address_space:  global
        .offset:         8
        .size:           8
        .value_kind:     global_buffer
      - .offset:         16
        .size:           4
        .value_kind:     by_value
      - .offset:         20
        .size:           4
        .value_kind:     by_value
      - .offset:         24
        .size:           4
        .value_kind:     by_value
      - .offset:         32
        .size:           4
        .value_kind:     hidden_block_count_x
      - .offset:         36
        .size:           4
        .value_kind:     hidden_block_count_y
      - .offset:         40
        .size:           4
        .value_kind:     hidden_block_count_z
      - .offset:         44
        .size:           2
        .value_kind:     hidden_group_size_x
      - .offset:         46
        .size:           2
        .value_kind:     hidden_group_size_y
      - .offset:         48
        .size:           2
        .value_kind:     hidden_group_size_z
      - .offset:         50
        .size:           2
        .value_kind:     hidden_remainder_x
      - .offset:         52
        .size:           2
        .value_kind:     hidden_remainder_y
      - .offset:         54
        .size:           2
        .value_kind:     hidden_remainder_z
      - .offset:         72
        .size:           8
        .value_kind:     hidden_global_offset_x
      - .offset:         80
        .size:           8
        .value_kind:     hidden_global_offset_y
      - .offset:         88
        .size:           8
        .value_kind:     hidden_global_offset_z
      - .offset:         96
        .size:           2
        .value_kind:     hidden_grid_dims
    .group_segment_fixed_size: 0
    .kernarg_segment_align: 8
    .kernarg_segment_size: 288
    .language:       OpenCL C
    .language_version:
      - 2
      - 0
    .max_flat_workgroup_size: 1024
    .name:           _ZN4vllm24swigluoai_and_mul_kernelIN3c104HalfETnPFT_RKS3_S5_ffEXadL_ZNS_17swigluoai_and_mulIS2_EES3_S5_S5_ffEEEEvPS3_PS4_iff
    .private_segment_fixed_size: 0
    .sgpr_count:     22
    .sgpr_spill_count: 0
    .symbol:         _ZN4vllm24swigluoai_and_mul_kernelIN3c104HalfETnPFT_RKS3_S5_ffEXadL_ZNS_17swigluoai_and_mulIS2_EES3_S5_S5_ffEEEEvPS3_PS4_iff.kd
    .uniform_work_group_size: 1
    .uses_dynamic_stack: false
    .vgpr_count:     29
    .vgpr_spill_count: 0
    .wavefront_size: 32
    .workgroup_processor_mode: 1
  - .args:
      - .actual_access:  write_only
        .address_space:  global
        .offset:         0
        .size:           8
        .value_kind:     global_buffer
      - .actual_access:  read_only
        .address_space:  global
        .offset:         8
        .size:           8
        .value_kind:     global_buffer
      - .offset:         16
        .size:           4
        .value_kind:     by_value
      - .offset:         20
        .size:           4
        .value_kind:     by_value
      - .offset:         24
        .size:           4
        .value_kind:     by_value
      - .offset:         32
        .size:           4
        .value_kind:     hidden_block_count_x
      - .offset:         36
        .size:           4
        .value_kind:     hidden_block_count_y
      - .offset:         40
        .size:           4
        .value_kind:     hidden_block_count_z
      - .offset:         44
        .size:           2
        .value_kind:     hidden_group_size_x
      - .offset:         46
        .size:           2
        .value_kind:     hidden_group_size_y
      - .offset:         48
        .size:           2
        .value_kind:     hidden_group_size_z
      - .offset:         50
        .size:           2
        .value_kind:     hidden_remainder_x
      - .offset:         52
        .size:           2
        .value_kind:     hidden_remainder_y
      - .offset:         54
        .size:           2
        .value_kind:     hidden_remainder_z
      - .offset:         72
        .size:           8
        .value_kind:     hidden_global_offset_x
      - .offset:         80
        .size:           8
        .value_kind:     hidden_global_offset_y
      - .offset:         88
        .size:           8
        .value_kind:     hidden_global_offset_z
      - .offset:         96
        .size:           2
        .value_kind:     hidden_grid_dims
    .group_segment_fixed_size: 0
    .kernarg_segment_align: 8
    .kernarg_segment_size: 288
    .language:       OpenCL C
    .language_version:
      - 2
      - 0
    .max_flat_workgroup_size: 1024
    .name:           _ZN4vllm24swigluoai_and_mul_kernelIN3c108BFloat16ETnPFT_RKS3_S5_ffEXadL_ZNS_17swigluoai_and_mulIS2_EES3_S5_S5_ffEEEEvPS3_PS4_iff
    .private_segment_fixed_size: 0
    .sgpr_count:     24
    .sgpr_spill_count: 0
    .symbol:         _ZN4vllm24swigluoai_and_mul_kernelIN3c108BFloat16ETnPFT_RKS3_S5_ffEXadL_ZNS_17swigluoai_and_mulIS2_EES3_S5_S5_ffEEEEvPS3_PS4_iff.kd
    .uniform_work_group_size: 1
    .uses_dynamic_stack: false
    .vgpr_count:     29
    .vgpr_spill_count: 0
    .wavefront_size: 32
    .workgroup_processor_mode: 1
  - .args:
      - .actual_access:  write_only
        .address_space:  global
        .offset:         0
        .size:           8
        .value_kind:     global_buffer
      - .actual_access:  read_only
        .address_space:  global
        .offset:         8
        .size:           8
        .value_kind:     global_buffer
      - .offset:         16
        .size:           4
        .value_kind:     by_value
      - .offset:         24
        .size:           4
        .value_kind:     hidden_block_count_x
      - .offset:         28
        .size:           4
        .value_kind:     hidden_block_count_y
      - .offset:         32
        .size:           4
        .value_kind:     hidden_block_count_z
      - .offset:         36
        .size:           2
        .value_kind:     hidden_group_size_x
      - .offset:         38
        .size:           2
        .value_kind:     hidden_group_size_y
      - .offset:         40
        .size:           2
        .value_kind:     hidden_group_size_z
      - .offset:         42
        .size:           2
        .value_kind:     hidden_remainder_x
      - .offset:         44
        .size:           2
        .value_kind:     hidden_remainder_y
      - .offset:         46
        .size:           2
        .value_kind:     hidden_remainder_z
      - .offset:         64
        .size:           8
        .value_kind:     hidden_global_offset_x
      - .offset:         72
        .size:           8
        .value_kind:     hidden_global_offset_y
      - .offset:         80
        .size:           8
        .value_kind:     hidden_global_offset_z
      - .offset:         88
        .size:           2
        .value_kind:     hidden_grid_dims
    .group_segment_fixed_size: 0
    .kernarg_segment_align: 8
    .kernarg_segment_size: 280
    .language:       OpenCL C
    .language_version:
      - 2
      - 0
    .max_flat_workgroup_size: 1024
    .name:           _ZN4vllm17activation_kernelIfTnPFT_RKS1_EXadL_ZNS_15gelu_new_kernelIfEES1_S3_EEEEvPS1_PS2_i
    .private_segment_fixed_size: 0
    .sgpr_count:     14
    .sgpr_spill_count: 0
    .symbol:         _ZN4vllm17activation_kernelIfTnPFT_RKS1_EXadL_ZNS_15gelu_new_kernelIfEES1_S3_EEEEvPS1_PS2_i.kd
    .uniform_work_group_size: 1
    .uses_dynamic_stack: false
    .vgpr_count:     10
    .vgpr_spill_count: 0
    .wavefront_size: 32
    .workgroup_processor_mode: 1
  - .args:
      - .actual_access:  write_only
        .address_space:  global
        .offset:         0
        .size:           8
        .value_kind:     global_buffer
      - .actual_access:  read_only
        .address_space:  global
        .offset:         8
        .size:           8
        .value_kind:     global_buffer
      - .offset:         16
        .size:           4
        .value_kind:     by_value
      - .offset:         24
        .size:           4
        .value_kind:     hidden_block_count_x
      - .offset:         28
        .size:           4
        .value_kind:     hidden_block_count_y
      - .offset:         32
        .size:           4
        .value_kind:     hidden_block_count_z
      - .offset:         36
        .size:           2
        .value_kind:     hidden_group_size_x
      - .offset:         38
        .size:           2
        .value_kind:     hidden_group_size_y
      - .offset:         40
        .size:           2
        .value_kind:     hidden_group_size_z
      - .offset:         42
        .size:           2
        .value_kind:     hidden_remainder_x
      - .offset:         44
        .size:           2
        .value_kind:     hidden_remainder_y
      - .offset:         46
        .size:           2
        .value_kind:     hidden_remainder_z
      - .offset:         64
        .size:           8
        .value_kind:     hidden_global_offset_x
      - .offset:         72
        .size:           8
        .value_kind:     hidden_global_offset_y
      - .offset:         80
        .size:           8
        .value_kind:     hidden_global_offset_z
      - .offset:         88
        .size:           2
        .value_kind:     hidden_grid_dims
    .group_segment_fixed_size: 0
    .kernarg_segment_align: 8
    .kernarg_segment_size: 280
    .language:       OpenCL C
    .language_version:
      - 2
      - 0
    .max_flat_workgroup_size: 1024
    .name:           _ZN4vllm17activation_kernelIN3c104HalfETnPFT_RKS3_EXadL_ZNS_15gelu_new_kernelIS2_EES3_S5_EEEEvPS3_PS4_i
    .private_segment_fixed_size: 0
    .sgpr_count:     16
    .sgpr_spill_count: 0
    .symbol:         _ZN4vllm17activation_kernelIN3c104HalfETnPFT_RKS3_EXadL_ZNS_15gelu_new_kernelIS2_EES3_S5_EEEEvPS3_PS4_i.kd
    .uniform_work_group_size: 1
    .uses_dynamic_stack: false
    .vgpr_count:     10
    .vgpr_spill_count: 0
    .wavefront_size: 32
    .workgroup_processor_mode: 1
  - .args:
      - .actual_access:  write_only
        .address_space:  global
        .offset:         0
        .size:           8
        .value_kind:     global_buffer
      - .actual_access:  read_only
        .address_space:  global
        .offset:         8
        .size:           8
        .value_kind:     global_buffer
      - .offset:         16
        .size:           4
        .value_kind:     by_value
      - .offset:         24
        .size:           4
        .value_kind:     hidden_block_count_x
      - .offset:         28
        .size:           4
        .value_kind:     hidden_block_count_y
      - .offset:         32
        .size:           4
        .value_kind:     hidden_block_count_z
      - .offset:         36
        .size:           2
        .value_kind:     hidden_group_size_x
      - .offset:         38
        .size:           2
        .value_kind:     hidden_group_size_y
      - .offset:         40
        .size:           2
        .value_kind:     hidden_group_size_z
      - .offset:         42
        .size:           2
        .value_kind:     hidden_remainder_x
      - .offset:         44
        .size:           2
        .value_kind:     hidden_remainder_y
      - .offset:         46
        .size:           2
        .value_kind:     hidden_remainder_z
      - .offset:         64
        .size:           8
        .value_kind:     hidden_global_offset_x
      - .offset:         72
        .size:           8
        .value_kind:     hidden_global_offset_y
      - .offset:         80
        .size:           8
        .value_kind:     hidden_global_offset_z
      - .offset:         88
        .size:           2
        .value_kind:     hidden_grid_dims
    .group_segment_fixed_size: 0
    .kernarg_segment_align: 8
    .kernarg_segment_size: 280
    .language:       OpenCL C
    .language_version:
      - 2
      - 0
    .max_flat_workgroup_size: 1024
    .name:           _ZN4vllm17activation_kernelIN3c108BFloat16ETnPFT_RKS3_EXadL_ZNS_15gelu_new_kernelIS2_EES3_S5_EEEEvPS3_PS4_i
    .private_segment_fixed_size: 0
    .sgpr_count:     14
    .sgpr_spill_count: 0
    .symbol:         _ZN4vllm17activation_kernelIN3c108BFloat16ETnPFT_RKS3_EXadL_ZNS_15gelu_new_kernelIS2_EES3_S5_EEEEvPS3_PS4_i.kd
    .uniform_work_group_size: 1
    .uses_dynamic_stack: false
    .vgpr_count:     10
    .vgpr_spill_count: 0
    .wavefront_size: 32
    .workgroup_processor_mode: 1
  - .args:
      - .actual_access:  write_only
        .address_space:  global
        .offset:         0
        .size:           8
        .value_kind:     global_buffer
      - .actual_access:  read_only
        .address_space:  global
        .offset:         8
        .size:           8
        .value_kind:     global_buffer
      - .offset:         16
        .size:           4
        .value_kind:     by_value
      - .offset:         24
        .size:           4
        .value_kind:     hidden_block_count_x
      - .offset:         28
        .size:           4
        .value_kind:     hidden_block_count_y
      - .offset:         32
        .size:           4
        .value_kind:     hidden_block_count_z
      - .offset:         36
        .size:           2
        .value_kind:     hidden_group_size_x
      - .offset:         38
        .size:           2
        .value_kind:     hidden_group_size_y
      - .offset:         40
        .size:           2
        .value_kind:     hidden_group_size_z
      - .offset:         42
        .size:           2
        .value_kind:     hidden_remainder_x
      - .offset:         44
        .size:           2
        .value_kind:     hidden_remainder_y
      - .offset:         46
        .size:           2
        .value_kind:     hidden_remainder_z
      - .offset:         64
        .size:           8
        .value_kind:     hidden_global_offset_x
      - .offset:         72
        .size:           8
        .value_kind:     hidden_global_offset_y
      - .offset:         80
        .size:           8
        .value_kind:     hidden_global_offset_z
      - .offset:         88
        .size:           2
        .value_kind:     hidden_grid_dims
    .group_segment_fixed_size: 0
    .kernarg_segment_align: 8
    .kernarg_segment_size: 280
    .language:       OpenCL C
    .language_version:
      - 2
      - 0
    .max_flat_workgroup_size: 1024
    .name:           _ZN4vllm17activation_kernelIfTnPFT_RKS1_EXadL_ZNS_16gelu_fast_kernelIfEES1_S3_EEEEvPS1_PS2_i
    .private_segment_fixed_size: 0
    .sgpr_count:     14
    .sgpr_spill_count: 0
    .symbol:         _ZN4vllm17activation_kernelIfTnPFT_RKS1_EXadL_ZNS_16gelu_fast_kernelIfEES1_S3_EEEEvPS1_PS2_i.kd
    .uniform_work_group_size: 1
    .uses_dynamic_stack: false
    .vgpr_count:     10
    .vgpr_spill_count: 0
    .wavefront_size: 32
    .workgroup_processor_mode: 1
  - .args:
      - .actual_access:  write_only
        .address_space:  global
        .offset:         0
        .size:           8
        .value_kind:     global_buffer
      - .actual_access:  read_only
        .address_space:  global
        .offset:         8
        .size:           8
        .value_kind:     global_buffer
      - .offset:         16
        .size:           4
        .value_kind:     by_value
      - .offset:         24
        .size:           4
        .value_kind:     hidden_block_count_x
      - .offset:         28
        .size:           4
        .value_kind:     hidden_block_count_y
      - .offset:         32
        .size:           4
        .value_kind:     hidden_block_count_z
      - .offset:         36
        .size:           2
        .value_kind:     hidden_group_size_x
      - .offset:         38
        .size:           2
        .value_kind:     hidden_group_size_y
      - .offset:         40
        .size:           2
        .value_kind:     hidden_group_size_z
      - .offset:         42
        .size:           2
        .value_kind:     hidden_remainder_x
      - .offset:         44
        .size:           2
        .value_kind:     hidden_remainder_y
      - .offset:         46
        .size:           2
        .value_kind:     hidden_remainder_z
      - .offset:         64
        .size:           8
        .value_kind:     hidden_global_offset_x
      - .offset:         72
        .size:           8
        .value_kind:     hidden_global_offset_y
      - .offset:         80
        .size:           8
        .value_kind:     hidden_global_offset_z
      - .offset:         88
        .size:           2
        .value_kind:     hidden_grid_dims
    .group_segment_fixed_size: 0
    .kernarg_segment_align: 8
    .kernarg_segment_size: 280
    .language:       OpenCL C
    .language_version:
      - 2
      - 0
    .max_flat_workgroup_size: 1024
    .name:           _ZN4vllm17activation_kernelIN3c104HalfETnPFT_RKS3_EXadL_ZNS_16gelu_fast_kernelIS2_EES3_S5_EEEEvPS3_PS4_i
    .private_segment_fixed_size: 0
    .sgpr_count:     16
    .sgpr_spill_count: 0
    .symbol:         _ZN4vllm17activation_kernelIN3c104HalfETnPFT_RKS3_EXadL_ZNS_16gelu_fast_kernelIS2_EES3_S5_EEEEvPS3_PS4_i.kd
    .uniform_work_group_size: 1
    .uses_dynamic_stack: false
    .vgpr_count:     10
    .vgpr_spill_count: 0
    .wavefront_size: 32
    .workgroup_processor_mode: 1
  - .args:
      - .actual_access:  write_only
        .address_space:  global
        .offset:         0
        .size:           8
        .value_kind:     global_buffer
      - .actual_access:  read_only
        .address_space:  global
        .offset:         8
        .size:           8
        .value_kind:     global_buffer
      - .offset:         16
        .size:           4
        .value_kind:     by_value
      - .offset:         24
        .size:           4
        .value_kind:     hidden_block_count_x
      - .offset:         28
        .size:           4
        .value_kind:     hidden_block_count_y
      - .offset:         32
        .size:           4
        .value_kind:     hidden_block_count_z
      - .offset:         36
        .size:           2
        .value_kind:     hidden_group_size_x
      - .offset:         38
        .size:           2
        .value_kind:     hidden_group_size_y
      - .offset:         40
        .size:           2
        .value_kind:     hidden_group_size_z
      - .offset:         42
        .size:           2
        .value_kind:     hidden_remainder_x
      - .offset:         44
        .size:           2
        .value_kind:     hidden_remainder_y
      - .offset:         46
        .size:           2
        .value_kind:     hidden_remainder_z
      - .offset:         64
        .size:           8
        .value_kind:     hidden_global_offset_x
      - .offset:         72
        .size:           8
        .value_kind:     hidden_global_offset_y
      - .offset:         80
        .size:           8
        .value_kind:     hidden_global_offset_z
      - .offset:         88
        .size:           2
        .value_kind:     hidden_grid_dims
    .group_segment_fixed_size: 0
    .kernarg_segment_align: 8
    .kernarg_segment_size: 280
    .language:       OpenCL C
    .language_version:
      - 2
      - 0
    .max_flat_workgroup_size: 1024
    .name:           _ZN4vllm17activation_kernelIN3c108BFloat16ETnPFT_RKS3_EXadL_ZNS_16gelu_fast_kernelIS2_EES3_S5_EEEEvPS3_PS4_i
    .private_segment_fixed_size: 0
    .sgpr_count:     14
    .sgpr_spill_count: 0
    .symbol:         _ZN4vllm17activation_kernelIN3c108BFloat16ETnPFT_RKS3_EXadL_ZNS_16gelu_fast_kernelIS2_EES3_S5_EEEEvPS3_PS4_i.kd
    .uniform_work_group_size: 1
    .uses_dynamic_stack: false
    .vgpr_count:     10
    .vgpr_spill_count: 0
    .wavefront_size: 32
    .workgroup_processor_mode: 1
  - .args:
      - .actual_access:  write_only
        .address_space:  global
        .offset:         0
        .size:           8
        .value_kind:     global_buffer
      - .actual_access:  read_only
        .address_space:  global
        .offset:         8
        .size:           8
        .value_kind:     global_buffer
      - .offset:         16
        .size:           4
        .value_kind:     by_value
      - .offset:         24
        .size:           4
        .value_kind:     hidden_block_count_x
      - .offset:         28
        .size:           4
        .value_kind:     hidden_block_count_y
      - .offset:         32
        .size:           4
        .value_kind:     hidden_block_count_z
      - .offset:         36
        .size:           2
        .value_kind:     hidden_group_size_x
      - .offset:         38
        .size:           2
        .value_kind:     hidden_group_size_y
      - .offset:         40
        .size:           2
        .value_kind:     hidden_group_size_z
      - .offset:         42
        .size:           2
        .value_kind:     hidden_remainder_x
      - .offset:         44
        .size:           2
        .value_kind:     hidden_remainder_y
      - .offset:         46
        .size:           2
        .value_kind:     hidden_remainder_z
      - .offset:         64
        .size:           8
        .value_kind:     hidden_global_offset_x
      - .offset:         72
        .size:           8
        .value_kind:     hidden_global_offset_y
      - .offset:         80
        .size:           8
        .value_kind:     hidden_global_offset_z
      - .offset:         88
        .size:           2
        .value_kind:     hidden_grid_dims
    .group_segment_fixed_size: 0
    .kernarg_segment_align: 8
    .kernarg_segment_size: 280
    .language:       OpenCL C
    .language_version:
      - 2
      - 0
    .max_flat_workgroup_size: 1024
    .name:           _ZN4vllm17activation_kernelIfTnPFT_RKS1_EXadL_ZNS_17gelu_quick_kernelIfEES1_S3_EEEEvPS1_PS2_i
    .private_segment_fixed_size: 0
    .sgpr_count:     12
    .sgpr_spill_count: 0
    .symbol:         _ZN4vllm17activation_kernelIfTnPFT_RKS1_EXadL_ZNS_17gelu_quick_kernelIfEES1_S3_EEEEvPS1_PS2_i.kd
    .uniform_work_group_size: 1
    .uses_dynamic_stack: false
    .vgpr_count:     12
    .vgpr_spill_count: 0
    .wavefront_size: 32
    .workgroup_processor_mode: 1
  - .args:
      - .actual_access:  write_only
        .address_space:  global
        .offset:         0
        .size:           8
        .value_kind:     global_buffer
      - .actual_access:  read_only
        .address_space:  global
        .offset:         8
        .size:           8
        .value_kind:     global_buffer
      - .offset:         16
        .size:           4
        .value_kind:     by_value
      - .offset:         24
        .size:           4
        .value_kind:     hidden_block_count_x
      - .offset:         28
        .size:           4
        .value_kind:     hidden_block_count_y
      - .offset:         32
        .size:           4
        .value_kind:     hidden_block_count_z
      - .offset:         36
        .size:           2
        .value_kind:     hidden_group_size_x
      - .offset:         38
        .size:           2
        .value_kind:     hidden_group_size_y
      - .offset:         40
        .size:           2
        .value_kind:     hidden_group_size_z
      - .offset:         42
        .size:           2
        .value_kind:     hidden_remainder_x
      - .offset:         44
        .size:           2
        .value_kind:     hidden_remainder_y
      - .offset:         46
        .size:           2
        .value_kind:     hidden_remainder_z
      - .offset:         64
        .size:           8
        .value_kind:     hidden_global_offset_x
      - .offset:         72
        .size:           8
        .value_kind:     hidden_global_offset_y
      - .offset:         80
        .size:           8
        .value_kind:     hidden_global_offset_z
      - .offset:         88
        .size:           2
        .value_kind:     hidden_grid_dims
    .group_segment_fixed_size: 0
    .kernarg_segment_align: 8
    .kernarg_segment_size: 280
    .language:       OpenCL C
    .language_version:
      - 2
      - 0
    .max_flat_workgroup_size: 1024
    .name:           _ZN4vllm17activation_kernelIN3c104HalfETnPFT_RKS3_EXadL_ZNS_17gelu_quick_kernelIS2_EES3_S5_EEEEvPS3_PS4_i
    .private_segment_fixed_size: 0
    .sgpr_count:     15
    .sgpr_spill_count: 0
    .symbol:         _ZN4vllm17activation_kernelIN3c104HalfETnPFT_RKS3_EXadL_ZNS_17gelu_quick_kernelIS2_EES3_S5_EEEEvPS3_PS4_i.kd
    .uniform_work_group_size: 1
    .uses_dynamic_stack: false
    .vgpr_count:     25
    .vgpr_spill_count: 0
    .wavefront_size: 32
    .workgroup_processor_mode: 1
  - .args:
      - .actual_access:  write_only
        .address_space:  global
        .offset:         0
        .size:           8
        .value_kind:     global_buffer
      - .actual_access:  read_only
        .address_space:  global
        .offset:         8
        .size:           8
        .value_kind:     global_buffer
      - .offset:         16
        .size:           4
        .value_kind:     by_value
      - .offset:         24
        .size:           4
        .value_kind:     hidden_block_count_x
      - .offset:         28
        .size:           4
        .value_kind:     hidden_block_count_y
      - .offset:         32
        .size:           4
        .value_kind:     hidden_block_count_z
      - .offset:         36
        .size:           2
        .value_kind:     hidden_group_size_x
      - .offset:         38
        .size:           2
        .value_kind:     hidden_group_size_y
      - .offset:         40
        .size:           2
        .value_kind:     hidden_group_size_z
      - .offset:         42
        .size:           2
        .value_kind:     hidden_remainder_x
      - .offset:         44
        .size:           2
        .value_kind:     hidden_remainder_y
      - .offset:         46
        .size:           2
        .value_kind:     hidden_remainder_z
      - .offset:         64
        .size:           8
        .value_kind:     hidden_global_offset_x
      - .offset:         72
        .size:           8
        .value_kind:     hidden_global_offset_y
      - .offset:         80
        .size:           8
        .value_kind:     hidden_global_offset_z
      - .offset:         88
        .size:           2
        .value_kind:     hidden_grid_dims
    .group_segment_fixed_size: 0
    .kernarg_segment_align: 8
    .kernarg_segment_size: 280
    .language:       OpenCL C
    .language_version:
      - 2
      - 0
    .max_flat_workgroup_size: 1024
    .name:           _ZN4vllm17activation_kernelIN3c108BFloat16ETnPFT_RKS3_EXadL_ZNS_17gelu_quick_kernelIS2_EES3_S5_EEEEvPS3_PS4_i
    .private_segment_fixed_size: 0
    .sgpr_count:     15
    .sgpr_spill_count: 0
    .symbol:         _ZN4vllm17activation_kernelIN3c108BFloat16ETnPFT_RKS3_EXadL_ZNS_17gelu_quick_kernelIS2_EES3_S5_EEEEvPS3_PS4_i.kd
    .uniform_work_group_size: 1
    .uses_dynamic_stack: false
    .vgpr_count:     25
    .vgpr_spill_count: 0
    .wavefront_size: 32
    .workgroup_processor_mode: 1
amdhsa.target:   amdgcn-amd-amdhsa--gfx1201
amdhsa.version:
  - 1
  - 2
...

	.end_amdgpu_metadata
